;; amdgpu-corpus repo=ROCm/rocFFT kind=compiled arch=gfx1201 opt=O3
	.text
	.amdgcn_target "amdgcn-amd-amdhsa--gfx1201"
	.amdhsa_code_object_version 6
	.protected	bluestein_single_fwd_len132_dim1_sp_op_CI_CI ; -- Begin function bluestein_single_fwd_len132_dim1_sp_op_CI_CI
	.globl	bluestein_single_fwd_len132_dim1_sp_op_CI_CI
	.p2align	8
	.type	bluestein_single_fwd_len132_dim1_sp_op_CI_CI,@function
bluestein_single_fwd_len132_dim1_sp_op_CI_CI: ; @bluestein_single_fwd_len132_dim1_sp_op_CI_CI
; %bb.0:
	s_load_b128 s[4:7], s[0:1], 0x28
	v_mul_u32_u24_e32 v1, 0xba3, v0
	s_mov_b32 s2, exec_lo
	s_delay_alu instid0(VALU_DEP_1) | instskip(NEXT) | instid1(VALU_DEP_1)
	v_lshrrev_b32_e32 v1, 16, v1
	v_mad_co_u64_u32 v[28:29], null, ttmp9, 5, v[1:2]
	v_mov_b32_e32 v29, 0
	s_wait_kmcnt 0x0
	s_delay_alu instid0(VALU_DEP_1)
	v_cmpx_gt_u64_e64 s[4:5], v[28:29]
	s_cbranch_execz .LBB0_15
; %bb.1:
	v_mul_hi_u32 v2, 0xcccccccd, v28
	v_mul_lo_u16 v1, v1, 22
	s_clause 0x1
	s_load_b64 s[14:15], s[0:1], 0x0
	s_load_b64 s[12:13], s[0:1], 0x38
	s_delay_alu instid0(VALU_DEP_1) | instskip(NEXT) | instid1(VALU_DEP_3)
	v_sub_nc_u16 v0, v0, v1
	v_lshrrev_b32_e32 v2, 2, v2
	s_delay_alu instid0(VALU_DEP_2) | instskip(SKIP_1) | instid1(VALU_DEP_3)
	v_and_b32_e32 v41, 0xffff, v0
	v_cmp_gt_u16_e32 vcc_lo, 12, v0
	v_lshl_add_u32 v2, v2, 2, v2
	s_delay_alu instid0(VALU_DEP_3) | instskip(SKIP_1) | instid1(VALU_DEP_3)
	v_lshlrev_b32_e32 v43, 3, v41
	v_or_b32_e32 v39, 48, v41
	v_sub_nc_u32_e32 v1, v28, v2
	v_or_b32_e32 v40, 0x60, v41
	s_delay_alu instid0(VALU_DEP_2) | instskip(NEXT) | instid1(VALU_DEP_1)
	v_mul_u32_u24_e32 v42, 0x84, v1
	v_lshlrev_b32_e32 v44, 3, v42
	s_and_saveexec_b32 s3, vcc_lo
	s_cbranch_execz .LBB0_3
; %bb.2:
	s_load_b64 s[4:5], s[0:1], 0x18
	s_delay_alu instid0(VALU_DEP_1)
	v_lshl_add_u32 v57, v41, 3, v44
	s_wait_kmcnt 0x0
	s_load_b128 s[8:11], s[4:5], 0x0
	s_wait_kmcnt 0x0
	v_mad_co_u64_u32 v[0:1], null, s10, v28, 0
	v_mad_co_u64_u32 v[2:3], null, s8, v41, 0
	v_mad_co_u64_u32 v[4:5], null, s8, v39, 0
	s_mul_u64 s[4:5], s[8:9], 0x60
	s_delay_alu instid0(VALU_DEP_2) | instskip(SKIP_1) | instid1(VALU_DEP_3)
	v_mad_co_u64_u32 v[6:7], null, s11, v28, v[1:2]
	v_mad_co_u64_u32 v[7:8], null, s8, v40, 0
	;; [unrolled: 1-line block ×3, first 2 shown]
	s_clause 0x2
	global_load_b64 v[10:11], v43, s[14:15]
	global_load_b64 v[12:13], v43, s[14:15] offset:96
	global_load_b64 v[14:15], v43, s[14:15] offset:384
	v_dual_mov_b32 v1, v6 :: v_dual_mov_b32 v6, v8
	s_delay_alu instid0(VALU_DEP_1) | instskip(NEXT) | instid1(VALU_DEP_2)
	v_lshlrev_b64_e32 v[0:1], 3, v[0:1]
	v_mad_co_u64_u32 v[16:17], null, s9, v40, v[6:7]
	v_mov_b32_e32 v3, v9
	v_mad_co_u64_u32 v[8:9], null, s9, v39, v[5:6]
	s_delay_alu instid0(VALU_DEP_4) | instskip(SKIP_2) | instid1(VALU_DEP_3)
	v_add_co_u32 v20, s2, s6, v0
	s_mul_i32 s6, s9, 0xc0
	v_add_co_ci_u32_e64 v21, s2, s7, v1, s2
	v_dual_mov_b32 v5, v8 :: v_dual_mov_b32 v8, v16
	v_lshlrev_b64_e32 v[2:3], 3, v[2:3]
	s_delay_alu instid0(VALU_DEP_2) | instskip(NEXT) | instid1(VALU_DEP_3)
	v_lshlrev_b64_e32 v[4:5], 3, v[4:5]
	v_lshlrev_b64_e32 v[6:7], 3, v[7:8]
	s_delay_alu instid0(VALU_DEP_3) | instskip(SKIP_1) | instid1(VALU_DEP_4)
	v_add_co_u32 v0, s2, v20, v2
	s_wait_alu 0xf1ff
	v_add_co_ci_u32_e64 v1, s2, v21, v3, s2
	s_wait_alu 0xfffe
	s_delay_alu instid0(VALU_DEP_2) | instskip(SKIP_1) | instid1(VALU_DEP_2)
	v_add_co_u32 v2, s2, v0, s4
	s_wait_alu 0xf1ff
	v_add_co_ci_u32_e64 v3, s2, s5, v1, s2
	s_delay_alu instid0(VALU_DEP_2) | instskip(SKIP_1) | instid1(VALU_DEP_2)
	v_add_co_u32 v16, s2, v2, s4
	s_wait_alu 0xf1ff
	v_add_co_ci_u32_e64 v17, s2, s5, v3, s2
	;; [unrolled: 4-line block ×3, first 2 shown]
	v_add_co_u32 v4, s2, v20, v4
	s_wait_alu 0xf1ff
	v_add_co_ci_u32_e64 v5, s2, v21, v5, s2
	v_add_co_u32 v6, s2, v20, v6
	s_wait_alu 0xf1ff
	v_add_co_ci_u32_e64 v7, s2, v21, v7, s2
	global_load_b64 v[0:1], v[0:1], off
	global_load_b64 v[20:21], v43, s[14:15] offset:768
	s_clause 0x3
	global_load_b64 v[4:5], v[4:5], off
	global_load_b64 v[16:17], v[16:17], off
	;; [unrolled: 1-line block ×4, first 2 shown]
	v_mad_co_u64_u32 v[18:19], null, 0xc0, s8, v[8:9]
	s_clause 0x1
	global_load_b64 v[26:27], v43, s[14:15] offset:192
	global_load_b64 v[29:30], v43, s[14:15] offset:288
	global_load_b64 v[8:9], v[8:9], off
	v_add_nc_u32_e32 v58, v44, v43
	v_add_nc_u32_e32 v19, s6, v19
	v_add_co_u32 v22, s2, v18, s4
	s_wait_loadcnt 0x8
	v_mul_f32_e32 v51, v1, v11
	v_mul_f32_e32 v11, v0, v11
	s_wait_loadcnt 0x6
	v_mul_f32_e32 v53, v5, v15
	s_wait_loadcnt 0x4
	v_dual_fmac_f32 v51, v0, v10 :: v_dual_mul_f32 v0, v3, v13
	s_wait_alu 0xf1ff
	v_add_co_ci_u32_e64 v23, s2, s5, v19, s2
	v_add_co_u32 v24, s2, v22, s4
	s_wait_loadcnt 0x3
	v_mul_f32_e32 v55, v7, v21
	s_wait_alu 0xf1ff
	v_add_co_ci_u32_e64 v25, s2, s5, v23, s2
	global_load_b64 v[18:19], v[18:19], off
	s_clause 0x2
	global_load_b64 v[33:34], v43, s[14:15] offset:480
	global_load_b64 v[35:36], v43, s[14:15] offset:576
	;; [unrolled: 1-line block ×3, first 2 shown]
	global_load_b64 v[22:23], v[22:23], off
	v_mul_f32_e32 v15, v4, v15
	v_mul_f32_e32 v21, v6, v21
	v_mad_co_u64_u32 v[31:32], null, 0xc0, s8, v[24:25]
	global_load_b64 v[24:25], v[24:25], off
	v_fmac_f32_e32 v55, v6, v20
	v_fmac_f32_e32 v0, v2, v12
	v_add_nc_u32_e32 v32, s6, v32
	v_add_co_u32 v45, s2, v31, s4
	s_wait_alu 0xf1ff
	s_delay_alu instid0(VALU_DEP_2)
	v_add_co_ci_u32_e64 v46, s2, s5, v32, s2
	global_load_b64 v[31:32], v[31:32], off
	s_clause 0x1
	global_load_b64 v[47:48], v43, s[14:15] offset:864
	global_load_b64 v[49:50], v43, s[14:15] offset:960
	global_load_b64 v[45:46], v[45:46], off
	s_wait_loadcnt 0x8
	v_mul_f32_e32 v6, v19, v34
	v_fmac_f32_e32 v53, v4, v14
	v_mul_f32_e32 v4, v9, v30
	v_fma_f32 v52, v1, v10, -v11
	v_mul_f32_e32 v1, v2, v13
	v_fma_f32 v54, v5, v14, -v15
	;; [unrolled: 2-line block ×3, first 2 shown]
	s_wait_loadcnt 0x4
	v_dual_mul_f32 v10, v25, v38 :: v_dual_mul_f32 v5, v16, v27
	v_mul_f32_e32 v7, v8, v30
	v_fmac_f32_e32 v4, v8, v29
	v_mul_f32_e32 v8, v23, v36
	v_fma_f32 v1, v3, v12, -v1
	v_fmac_f32_e32 v2, v16, v26
	v_fmac_f32_e32 v6, v18, v33
	;; [unrolled: 1-line block ×4, first 2 shown]
	ds_store_b64 v57, v[51:52]
	s_wait_loadcnt 0x2
	v_mul_f32_e32 v12, v32, v48
	v_mul_f32_e32 v13, v31, v48
	s_wait_loadcnt 0x0
	v_mul_f32_e32 v15, v45, v50
	v_mul_f32_e32 v14, v46, v50
	v_fma_f32 v3, v17, v26, -v5
	v_fma_f32 v5, v9, v29, -v7
	v_mul_f32_e32 v7, v18, v34
	v_dual_mul_f32 v9, v22, v36 :: v_dual_fmac_f32 v12, v31, v47
	v_dual_mul_f32 v11, v24, v38 :: v_dual_fmac_f32 v14, v45, v49
	s_delay_alu instid0(VALU_DEP_3) | instskip(NEXT) | instid1(VALU_DEP_3)
	v_fma_f32 v7, v19, v33, -v7
	v_fma_f32 v9, v23, v35, -v9
	;; [unrolled: 1-line block ×3, first 2 shown]
	s_delay_alu instid0(VALU_DEP_4)
	v_fma_f32 v11, v25, v37, -v11
	v_fma_f32 v15, v46, v49, -v15
	ds_store_2addr_b64 v58, v[0:1], v[2:3] offset0:12 offset1:24
	ds_store_2addr_b64 v58, v[4:5], v[53:54] offset0:36 offset1:48
	;; [unrolled: 1-line block ×5, first 2 shown]
.LBB0_3:
	s_or_b32 exec_lo, exec_lo, s3
	s_clause 0x1
	s_load_b64 s[4:5], s[0:1], 0x20
	s_load_b64 s[2:3], s[0:1], 0x8
	v_mov_b32_e32 v8, 0
	v_mov_b32_e32 v9, 0
	global_wb scope:SCOPE_SE
	s_wait_dscnt 0x0
	s_wait_kmcnt 0x0
	s_barrier_signal -1
	s_barrier_wait -1
	global_inv scope:SCOPE_SE
                                        ; implicit-def: $vgpr12
                                        ; implicit-def: $vgpr16
                                        ; implicit-def: $vgpr31
                                        ; implicit-def: $vgpr22
                                        ; implicit-def: $vgpr26
	s_and_saveexec_b32 s0, vcc_lo
	s_cbranch_execz .LBB0_5
; %bb.4:
	v_lshl_add_u32 v0, v42, 3, v43
	ds_load_2addr_b64 v[8:11], v0 offset1:12
	ds_load_2addr_b64 v[24:27], v0 offset0:24 offset1:36
	ds_load_2addr_b64 v[20:23], v0 offset0:48 offset1:60
	ds_load_2addr_b64 v[12:15], v0 offset0:72 offset1:84
	ds_load_2addr_b64 v[16:19], v0 offset0:96 offset1:108
	ds_load_b64 v[31:32], v0 offset:960
.LBB0_5:
	s_wait_alu 0xfffe
	s_or_b32 exec_lo, exec_lo, s0
	s_wait_dscnt 0x0
	v_dual_sub_f32 v1, v11, v32 :: v_dual_sub_f32 v4, v10, v31
	v_dual_add_f32 v75, v31, v10 :: v_dual_add_f32 v78, v32, v11
	v_dual_sub_f32 v92, v27, v17 :: v_dual_add_f32 v77, v16, v26
	s_delay_alu instid0(VALU_DEP_3) | instskip(SKIP_2) | instid1(VALU_DEP_3)
	v_dual_mul_f32 v33, 0xbf0a6770, v1 :: v_dual_mul_f32 v34, 0xbf0a6770, v4
	v_dual_mul_f32 v37, 0xbf68dda4, v1 :: v_dual_mul_f32 v46, 0xbf68dda4, v4
	v_dual_mul_f32 v52, 0xbf7d64f0, v4 :: v_dual_sub_f32 v45, v25, v19
	v_fma_f32 v2, 0x3f575c64, v78, -v34
	v_mul_f32_e32 v57, 0xbf4178ce, v1
	s_delay_alu instid0(VALU_DEP_4) | instskip(NEXT) | instid1(VALU_DEP_4)
	v_fma_f32 v5, 0x3ed4b147, v78, -v46
	v_fma_f32 v7, 0xbe11bafb, v78, -v52
	s_delay_alu instid0(VALU_DEP_4) | instskip(NEXT) | instid1(VALU_DEP_4)
	v_dual_mul_f32 v63, 0xbf4178ce, v4 :: v_dual_add_f32 v2, v2, v9
	v_dual_fmamk_f32 v29, v75, 0xbf27a4f4, v57 :: v_dual_sub_f32 v90, v24, v18
	s_delay_alu instid0(VALU_DEP_4)
	v_dual_fmamk_f32 v0, v75, 0x3f575c64, v33 :: v_dual_add_f32 v5, v5, v9
	v_fmamk_f32 v3, v75, 0x3ed4b147, v37
	v_dual_add_f32 v7, v7, v9 :: v_dual_add_f32 v72, v18, v24
	v_fma_f32 v30, 0xbf27a4f4, v78, -v63
	v_dual_mul_f32 v35, 0xbf68dda4, v45 :: v_dual_mul_f32 v36, 0xbf68dda4, v90
	v_dual_mul_f32 v49, 0xbf4178ce, v45 :: v_dual_mul_f32 v50, 0xbf4178ce, v90
	;; [unrolled: 1-line block ×3, first 2 shown]
	v_add_f32_e32 v76, v19, v25
	v_add_f32_e32 v0, v0, v8
	v_dual_mul_f32 v48, 0xbf7d64f0, v1 :: v_dual_add_f32 v3, v3, v8
	v_dual_add_f32 v30, v30, v9 :: v_dual_fmamk_f32 v47, v72, 0xbf27a4f4, v49
	v_fmamk_f32 v38, v72, 0x3ed4b147, v35
	v_fmamk_f32 v53, v72, 0xbf75a155, v54
	v_fma_f32 v51, 0xbf27a4f4, v76, -v50
	v_dual_mul_f32 v70, 0x3f7d64f0, v90 :: v_dual_add_f32 v79, v17, v27
	s_delay_alu instid0(VALU_DEP_4) | instskip(NEXT) | instid1(VALU_DEP_3)
	v_dual_add_f32 v3, v47, v3 :: v_dual_add_f32 v0, v38, v0
	v_add_f32_e32 v5, v51, v5
	v_fma_f32 v38, 0x3ed4b147, v76, -v36
	v_fma_f32 v51, 0xbf75a155, v76, -v61
	v_dual_fmamk_f32 v6, v75, 0xbe11bafb, v48 :: v_dual_add_f32 v29, v29, v8
	v_sub_f32_e32 v94, v26, v16
	s_delay_alu instid0(VALU_DEP_4) | instskip(SKIP_2) | instid1(VALU_DEP_4)
	v_dual_add_f32 v2, v38, v2 :: v_dual_mul_f32 v67, 0x3f7d64f0, v45
	v_fma_f32 v55, 0xbe11bafb, v76, -v70
	v_dual_add_f32 v7, v51, v7 :: v_dual_mul_f32 v38, 0xbf7d64f0, v92
	v_dual_mul_f32 v47, 0xbf7d64f0, v94 :: v_dual_add_f32 v6, v6, v8
	s_delay_alu instid0(VALU_DEP_3) | instskip(SKIP_1) | instid1(VALU_DEP_4)
	v_add_f32_e32 v83, v55, v30
	v_dual_mul_f32 v55, 0x3e903f40, v92 :: v_dual_mul_f32 v58, 0x3e903f40, v94
	v_fmamk_f32 v56, v77, 0xbe11bafb, v38
	s_delay_alu instid0(VALU_DEP_4) | instskip(SKIP_1) | instid1(VALU_DEP_4)
	v_dual_add_f32 v6, v53, v6 :: v_dual_fmamk_f32 v53, v72, 0xbe11bafb, v67
	v_fma_f32 v30, 0xbe11bafb, v79, -v47
	v_fma_f32 v51, 0xbf75a155, v79, -v58
	v_mul_f32_e32 v66, 0x3f68dda4, v94
	s_delay_alu instid0(VALU_DEP_4) | instskip(NEXT) | instid1(VALU_DEP_3)
	v_dual_add_f32 v0, v56, v0 :: v_dual_add_f32 v29, v53, v29
	v_dual_add_f32 v2, v30, v2 :: v_dual_add_f32 v5, v51, v5
	s_delay_alu instid0(VALU_DEP_3) | instskip(SKIP_3) | instid1(VALU_DEP_4)
	v_fma_f32 v56, 0x3ed4b147, v79, -v66
	v_fmamk_f32 v30, v77, 0xbf75a155, v55
	v_sub_f32_e32 v100, v20, v14
	v_dual_sub_f32 v96, v21, v15 :: v_dual_add_f32 v81, v14, v20
	v_dual_add_f32 v7, v56, v7 :: v_dual_mul_f32 v62, 0x3f68dda4, v92
	s_delay_alu instid0(VALU_DEP_4) | instskip(SKIP_1) | instid1(VALU_DEP_3)
	v_add_f32_e32 v3, v30, v3
	v_dual_sub_f32 v101, v23, v13 :: v_dual_sub_f32 v102, v22, v12
	v_dual_add_f32 v84, v12, v22 :: v_dual_fmamk_f32 v53, v77, 0x3ed4b147, v62
	v_mul_f32_e32 v69, 0xbf0a6770, v92
	s_delay_alu instid0(VALU_DEP_3) | instskip(NEXT) | instid1(VALU_DEP_4)
	v_dual_add_f32 v85, v13, v23 :: v_dual_mul_f32 v64, 0x3f0a6770, v101
	v_mul_f32_e32 v71, 0x3f0a6770, v102
	s_delay_alu instid0(VALU_DEP_4) | instskip(NEXT) | instid1(VALU_DEP_4)
	v_add_f32_e32 v6, v53, v6
	v_fmamk_f32 v30, v77, 0x3f575c64, v69
	v_mul_f32_e32 v53, 0xbf4178ce, v100
	v_dual_mul_f32 v51, 0xbf4178ce, v96 :: v_dual_add_f32 v82, v15, v21
	v_mul_f32_e32 v65, 0x3f7d64f0, v100
	s_delay_alu instid0(VALU_DEP_4) | instskip(SKIP_1) | instid1(VALU_DEP_4)
	v_dual_mul_f32 v74, 0xbf0a6770, v94 :: v_dual_add_f32 v87, v30, v29
	v_mul_f32_e32 v56, 0x3f7d64f0, v96
	v_fma_f32 v30, 0xbf27a4f4, v82, -v53
	v_fmamk_f32 v29, v81, 0xbf27a4f4, v51
	v_fma_f32 v60, 0xbe11bafb, v82, -v65
	v_mul_f32_e32 v68, 0xbf0a6770, v96
	s_delay_alu instid0(VALU_DEP_4) | instskip(NEXT) | instid1(VALU_DEP_3)
	v_dual_fmamk_f32 v59, v81, 0xbe11bafb, v56 :: v_dual_add_f32 v2, v30, v2
	v_dual_add_f32 v0, v29, v0 :: v_dual_add_f32 v5, v60, v5
	s_delay_alu instid0(VALU_DEP_3) | instskip(NEXT) | instid1(VALU_DEP_3)
	v_fmamk_f32 v29, v81, 0x3f575c64, v68
	v_add_f32_e32 v3, v59, v3
	v_mul_f32_e32 v59, 0xbe903f40, v101
	v_mul_f32_e32 v80, 0xbf0a6770, v100
	v_fma_f32 v91, 0x3f575c64, v85, -v71
	v_add_f32_e32 v6, v29, v6
	v_fmamk_f32 v86, v84, 0x3f575c64, v64
	v_fmamk_f32 v29, v84, 0xbf75a155, v59
	v_mul_f32_e32 v60, 0xbe903f40, v102
	v_mul_f32_e32 v73, 0xbf4178ce, v101
	v_fma_f32 v88, 0x3f575c64, v79, -v74
	v_fma_f32 v89, 0x3f575c64, v82, -v80
	v_add_f32_e32 v29, v29, v0
	v_fma_f32 v30, 0xbf75a155, v85, -v60
	v_mul_f32_e32 v99, 0xbe903f40, v4
	v_dual_mul_f32 v95, 0x3f0a6770, v45 :: v_dual_mul_f32 v98, 0x3f0a6770, v90
	s_delay_alu instid0(VALU_DEP_3)
	v_dual_add_f32 v7, v89, v7 :: v_dual_add_f32 v30, v30, v2
	v_add_f32_e32 v2, v86, v3
	v_mul_f32_e32 v86, 0xbe903f40, v96
	v_dual_fmamk_f32 v0, v84, 0xbf27a4f4, v73 :: v_dual_add_f32 v3, v91, v5
	v_add_f32_e32 v5, v88, v83
	v_mul_f32_e32 v89, 0x3f68dda4, v102
	s_delay_alu instid0(VALU_DEP_3) | instskip(SKIP_3) | instid1(VALU_DEP_4)
	v_dual_fmamk_f32 v91, v81, 0xbf75a155, v86 :: v_dual_add_f32 v0, v0, v6
	v_mul_f32_e32 v88, 0xbe903f40, v100
	v_fmamk_f32 v90, v72, 0x3f575c64, v95
	v_fma_f32 v104, 0x3f575c64, v76, -v98
	v_add_f32_e32 v103, v91, v87
	v_mul_f32_e32 v87, 0x3f68dda4, v101
	v_fma_f32 v93, 0xbf75a155, v82, -v88
	v_mul_f32_e32 v83, 0xbf4178ce, v102
	v_mul_f32_e32 v97, 0xbf4178ce, v94
	global_wb scope:SCOPE_SE
	s_barrier_signal -1
	v_dual_add_f32 v4, v93, v5 :: v_dual_mul_f32 v93, 0xbf4178ce, v92
	v_mul_f32_e32 v92, 0x3f68dda4, v96
	v_fmamk_f32 v5, v84, 0x3ed4b147, v87
	v_mul_f32_e32 v96, 0x3f68dda4, v100
	v_fma_f32 v94, 0xbf27a4f4, v79, -v97
	v_fma_f32 v6, 0xbf27a4f4, v85, -v83
	v_fmamk_f32 v100, v81, 0x3ed4b147, v92
	v_mul_f32_e32 v91, 0xbe903f40, v1
	s_barrier_wait -1
	global_inv scope:SCOPE_SE
	v_fmamk_f32 v1, v75, 0xbf75a155, v91
	s_delay_alu instid0(VALU_DEP_1) | instskip(NEXT) | instid1(VALU_DEP_1)
	v_add_f32_e32 v1, v1, v8
	v_dual_add_f32 v1, v90, v1 :: v_dual_fmamk_f32 v90, v77, 0xbf27a4f4, v93
	s_delay_alu instid0(VALU_DEP_1) | instskip(SKIP_2) | instid1(VALU_DEP_3)
	v_add_f32_e32 v1, v90, v1
	v_mul_f32_e32 v90, 0xbf7d64f0, v101
	v_fma_f32 v101, 0x3ed4b147, v82, -v96
	v_dual_add_f32 v100, v100, v1 :: v_dual_add_f32 v1, v6, v7
	v_fma_f32 v45, 0xbf75a155, v78, -v99
	v_add_f32_e32 v6, v5, v103
	s_delay_alu instid0(VALU_DEP_2) | instskip(NEXT) | instid1(VALU_DEP_1)
	v_add_f32_e32 v45, v45, v9
	v_add_f32_e32 v45, v104, v45
	s_delay_alu instid0(VALU_DEP_1) | instskip(SKIP_2) | instid1(VALU_DEP_3)
	v_dual_fmamk_f32 v104, v84, 0xbe11bafb, v90 :: v_dual_add_f32 v45, v94, v45
	v_mul_f32_e32 v94, 0xbf7d64f0, v102
	v_fma_f32 v102, 0x3ed4b147, v85, -v89
	v_add_f32_e32 v45, v101, v45
	s_delay_alu instid0(VALU_DEP_3) | instskip(NEXT) | instid1(VALU_DEP_3)
	v_fma_f32 v101, 0xbe11bafb, v85, -v94
	v_add_f32_e32 v7, v102, v4
	s_delay_alu instid0(VALU_DEP_2)
	v_dual_add_f32 v4, v104, v100 :: v_dual_add_f32 v5, v101, v45
	v_mul_lo_u16 v45, v41, 11
	s_and_saveexec_b32 s0, vcc_lo
	s_cbranch_execz .LBB0_7
; %bb.6:
	v_dual_mul_f32 v100, 0x3f575c64, v75 :: v_dual_mul_f32 v101, 0x3f575c64, v78
	v_dual_mul_f32 v102, 0x3ed4b147, v75 :: v_dual_mul_f32 v103, 0x3ed4b147, v78
	v_dual_mul_f32 v104, 0xbe11bafb, v75 :: v_dual_mul_f32 v105, 0xbe11bafb, v78
	v_dual_mul_f32 v106, 0xbf27a4f4, v75 :: v_dual_mul_f32 v107, 0xbf27a4f4, v78
	v_dual_mul_f32 v78, 0xbf75a155, v78 :: v_dual_mul_f32 v75, 0xbf75a155, v75
	v_mul_f32_e32 v109, 0x3ed4b147, v76
	v_mul_f32_e32 v108, 0x3ed4b147, v72
	;; [unrolled: 1-line block ×3, first 2 shown]
	s_delay_alu instid0(VALU_DEP_4) | instskip(SKIP_2) | instid1(VALU_DEP_3)
	v_dual_add_f32 v78, v99, v78 :: v_dual_mul_f32 v99, 0x3f575c64, v76
	v_mul_f32_e32 v114, 0xbf27a4f4, v79
	v_dual_mul_f32 v110, 0xbf27a4f4, v72 :: v_dual_sub_f32 v75, v75, v91
	v_dual_add_f32 v78, v78, v9 :: v_dual_mul_f32 v111, 0xbf27a4f4, v76
	s_delay_alu instid0(VALU_DEP_4) | instskip(SKIP_2) | instid1(VALU_DEP_3)
	v_dual_add_f32 v98, v98, v99 :: v_dual_mul_f32 v99, 0xbe11bafb, v72
	v_mul_f32_e32 v72, 0x3f575c64, v72
	v_mul_f32_e32 v113, 0xbf75a155, v76
	v_dual_add_f32 v75, v75, v8 :: v_dual_add_f32 v78, v98, v78
	v_mul_f32_e32 v98, 0xbe11bafb, v77
	s_delay_alu instid0(VALU_DEP_4) | instskip(SKIP_3) | instid1(VALU_DEP_4)
	v_dual_sub_f32 v72, v72, v95 :: v_dual_mul_f32 v95, 0xbf27a4f4, v77
	v_add_f32_e32 v97, v97, v114
	v_mul_f32_e32 v114, 0x3ed4b147, v82
	v_dual_mul_f32 v76, 0xbe11bafb, v76 :: v_dual_mul_f32 v91, 0xbe11bafb, v79
	v_add_f32_e32 v72, v72, v75
	s_delay_alu instid0(VALU_DEP_4) | instskip(NEXT) | instid1(VALU_DEP_4)
	v_add_f32_e32 v78, v97, v78
	v_dual_add_f32 v96, v96, v114 :: v_dual_sub_f32 v75, v95, v93
	v_mul_f32_e32 v97, 0xbf75a155, v77
	v_mul_f32_e32 v93, 0x3ed4b147, v77
	v_mul_f32_e32 v95, 0x3ed4b147, v79
	s_delay_alu instid0(VALU_DEP_4) | instskip(SKIP_3) | instid1(VALU_DEP_3)
	v_dual_mul_f32 v77, 0x3f575c64, v77 :: v_dual_add_f32 v72, v75, v72
	v_dual_mul_f32 v75, 0xbe11bafb, v85 :: v_dual_add_f32 v78, v96, v78
	;; [unrolled: 1-line block ×3, first 2 shown]
	v_mul_f32_e32 v114, 0xbf75a155, v79
	v_add_f32_e32 v75, v94, v75
	s_delay_alu instid0(VALU_DEP_3)
	v_dual_mul_f32 v79, 0x3f575c64, v79 :: v_dual_sub_f32 v92, v96, v92
	v_dual_add_f32 v70, v70, v76 :: v_dual_mul_f32 v115, 0xbf75a155, v85
	v_add_f32_e32 v63, v63, v9
	v_mul_f32_e32 v96, 0xbf27a4f4, v81
	v_dual_mul_f32 v94, 0xbf27a4f4, v82 :: v_dual_sub_f32 v57, v106, v57
	v_dual_mul_f32 v107, 0xbe11bafb, v81 :: v_dual_add_f32 v72, v92, v72
	v_dual_mul_f32 v92, 0xbe11bafb, v82 :: v_dual_sub_f32 v99, v99, v67
	v_mul_f32_e32 v106, 0x3f575c64, v82
	v_dual_mul_f32 v82, 0xbf75a155, v82 :: v_dual_add_f32 v63, v70, v63
	v_dual_add_f32 v74, v74, v79 :: v_dual_add_f32 v57, v57, v8
	v_mul_f32_e32 v76, 0x3f575c64, v81
	v_dual_mul_f32 v70, 0xbe11bafb, v84 :: v_dual_add_f32 v67, v75, v78
	v_mul_f32_e32 v79, 0xbf75a155, v84
	s_delay_alu instid0(VALU_DEP_4)
	v_dual_add_f32 v63, v74, v63 :: v_dual_add_f32 v82, v88, v82
	v_add_f32_e32 v61, v61, v113
	v_add_f32_e32 v52, v52, v105
	v_dual_mul_f32 v81, 0xbf75a155, v81 :: v_dual_sub_f32 v70, v70, v90
	v_dual_mul_f32 v90, 0x3f575c64, v84 :: v_dual_add_f32 v57, v99, v57
	v_mul_f32_e32 v105, 0x3f575c64, v85
	v_dual_mul_f32 v74, 0xbf27a4f4, v84 :: v_dual_sub_f32 v69, v77, v69
	v_mul_f32_e32 v88, 0xbf27a4f4, v85
	v_mul_f32_e32 v85, 0x3ed4b147, v85
	v_dual_add_f32 v63, v82, v63 :: v_dual_add_f32 v52, v52, v9
	v_dual_add_f32 v77, v66, v95 :: v_dual_mul_f32 v84, 0x3ed4b147, v84
	s_delay_alu instid0(VALU_DEP_3) | instskip(SKIP_2) | instid1(VALU_DEP_3)
	v_add_f32_e32 v75, v89, v85
	v_dual_add_f32 v57, v69, v57 :: v_dual_add_f32 v66, v70, v72
	v_sub_f32_e32 v69, v81, v86
	v_dual_add_f32 v61, v61, v52 :: v_dual_add_f32 v52, v75, v63
	v_sub_f32_e32 v48, v104, v48
	s_delay_alu instid0(VALU_DEP_3) | instskip(NEXT) | instid1(VALU_DEP_3)
	v_dual_add_f32 v46, v46, v103 :: v_dual_add_f32 v57, v69, v57
	v_add_f32_e32 v61, v77, v61
	v_add_f32_e32 v63, v80, v106
	v_sub_f32_e32 v54, v112, v54
	s_delay_alu instid0(VALU_DEP_4) | instskip(SKIP_1) | instid1(VALU_DEP_4)
	v_add_f32_e32 v46, v46, v9
	v_dual_add_f32 v48, v48, v8 :: v_dual_sub_f32 v37, v102, v37
	v_add_f32_e32 v61, v63, v61
	v_add_f32_e32 v63, v83, v88
	s_delay_alu instid0(VALU_DEP_3) | instskip(SKIP_3) | instid1(VALU_DEP_3)
	v_dual_sub_f32 v69, v84, v87 :: v_dual_add_f32 v48, v54, v48
	v_dual_sub_f32 v54, v93, v62 :: v_dual_add_f32 v11, v11, v9
	v_sub_f32_e32 v49, v110, v49
	v_dual_add_f32 v70, v50, v111 :: v_dual_add_f32 v37, v37, v8
	v_add_f32_e32 v48, v54, v48
	s_delay_alu instid0(VALU_DEP_4) | instskip(SKIP_1) | instid1(VALU_DEP_4)
	v_dual_sub_f32 v54, v76, v68 :: v_dual_add_f32 v11, v25, v11
	v_add_f32_e32 v50, v63, v61
	v_dual_add_f32 v46, v70, v46 :: v_dual_add_f32 v37, v49, v37
	s_delay_alu instid0(VALU_DEP_3) | instskip(NEXT) | instid1(VALU_DEP_4)
	v_add_f32_e32 v48, v54, v48
	v_dual_sub_f32 v54, v74, v73 :: v_dual_add_f32 v11, v27, v11
	v_dual_add_f32 v58, v58, v114 :: v_dual_sub_f32 v49, v97, v55
	v_dual_add_f32 v55, v71, v105 :: v_dual_add_f32 v10, v10, v8
	s_delay_alu instid0(VALU_DEP_3) | instskip(NEXT) | instid1(VALU_DEP_3)
	v_dual_add_f32 v11, v21, v11 :: v_dual_add_f32 v34, v34, v101
	v_dual_add_f32 v46, v58, v46 :: v_dual_add_f32 v37, v49, v37
	s_delay_alu instid0(VALU_DEP_3) | instskip(NEXT) | instid1(VALU_DEP_3)
	v_dual_add_f32 v49, v54, v48 :: v_dual_add_f32 v24, v24, v10
	v_add_f32_e32 v11, v23, v11
	s_delay_alu instid0(VALU_DEP_4) | instskip(SKIP_2) | instid1(VALU_DEP_3)
	v_dual_sub_f32 v56, v107, v56 :: v_dual_add_f32 v9, v34, v9
	v_dual_add_f32 v58, v65, v92 :: v_dual_sub_f32 v27, v100, v33
	v_add_f32_e32 v21, v36, v109
	v_dual_add_f32 v25, v56, v37 :: v_dual_add_f32 v24, v26, v24
	s_delay_alu instid0(VALU_DEP_3) | instskip(SKIP_1) | instid1(VALU_DEP_4)
	v_add_f32_e32 v46, v58, v46
	v_sub_f32_e32 v26, v90, v64
	v_dual_add_f32 v8, v27, v8 :: v_dual_add_f32 v9, v21, v9
	s_delay_alu instid0(VALU_DEP_4) | instskip(NEXT) | instid1(VALU_DEP_4)
	v_dual_add_f32 v20, v20, v24 :: v_dual_add_f32 v11, v13, v11
	v_add_f32_e32 v10, v55, v46
	v_add_f32_e32 v21, v47, v91
	v_sub_f32_e32 v24, v108, v35
	s_delay_alu instid0(VALU_DEP_4) | instskip(SKIP_1) | instid1(VALU_DEP_3)
	v_dual_add_f32 v20, v22, v20 :: v_dual_add_f32 v11, v15, v11
	v_sub_f32_e32 v13, v98, v38
	v_dual_add_f32 v9, v21, v9 :: v_dual_add_f32 v8, v24, v8
	s_delay_alu instid0(VALU_DEP_3) | instskip(SKIP_2) | instid1(VALU_DEP_4)
	v_add_f32_e32 v12, v12, v20
	v_add_f32_e32 v20, v53, v94
	v_add_f32_e32 v11, v17, v11
	v_dual_add_f32 v8, v13, v8 :: v_dual_and_b32 v17, 0xffff, v45
	v_sub_f32_e32 v13, v96, v51
	s_delay_alu instid0(VALU_DEP_4) | instskip(NEXT) | instid1(VALU_DEP_4)
	v_add_f32_e32 v9, v20, v9
	v_add_f32_e32 v15, v19, v11
	;; [unrolled: 1-line block ×3, first 2 shown]
	s_delay_alu instid0(VALU_DEP_4) | instskip(SKIP_1) | instid1(VALU_DEP_2)
	v_dual_add_f32 v8, v13, v8 :: v_dual_sub_f32 v13, v79, v59
	v_add_f32_e32 v12, v14, v12
	v_dual_add_f32 v14, v60, v115 :: v_dual_add_f32 v11, v13, v8
	s_delay_alu instid0(VALU_DEP_2) | instskip(SKIP_1) | instid1(VALU_DEP_2)
	v_add_f32_e32 v12, v16, v12
	v_add_lshl_u32 v8, v42, v17, 3
	v_add_f32_e32 v16, v18, v12
	s_delay_alu instid0(VALU_DEP_4) | instskip(SKIP_1) | instid1(VALU_DEP_3)
	v_add_f32_e32 v12, v14, v9
	v_dual_add_f32 v14, v32, v15 :: v_dual_add_f32 v9, v26, v25
	v_add_f32_e32 v13, v31, v16
	ds_store_2addr_b64 v8, v[13:14], v[11:12] offset1:1
	ds_store_2addr_b64 v8, v[9:10], v[49:50] offset0:2 offset1:3
	ds_store_2addr_b64 v8, v[51:52], v[66:67] offset0:4 offset1:5
	;; [unrolled: 1-line block ×4, first 2 shown]
	ds_store_b64 v8, v[29:30] offset:80
.LBB0_7:
	s_wait_alu 0xfffe
	s_or_b32 exec_lo, exec_lo, s0
	v_add_nc_u32_e32 v8, -11, v41
	v_cmp_gt_u16_e64 s0, 11, v41
	s_load_b128 s[4:7], s[4:5], 0x0
	global_wb scope:SCOPE_SE
	s_wait_dscnt 0x0
	s_wait_kmcnt 0x0
	s_barrier_signal -1
	s_barrier_wait -1
	v_cndmask_b32_e64 v33, v8, v41, s0
	global_inv scope:SCOPE_SE
	v_add_lshl_u32 v47, v42, v41, 3
	v_mul_i32_i24_e32 v8, 40, v33
	v_mul_hi_i32_i24_e32 v9, 40, v33
	s_delay_alu instid0(VALU_DEP_2) | instskip(SKIP_1) | instid1(VALU_DEP_2)
	v_add_co_u32 v16, s0, s2, v8
	s_wait_alu 0xf1ff
	v_add_co_ci_u32_e64 v17, s0, s3, v9, s0
	v_cmp_lt_u16_e64 s0, 10, v41
	s_clause 0x2
	global_load_b128 v[12:15], v[16:17], off
	global_load_b128 v[8:11], v[16:17], off offset:16
	global_load_b64 v[31:32], v[16:17], off offset:32
	ds_load_2addr_b64 v[16:19], v47 offset1:22
	ds_load_2addr_b64 v[20:23], v47 offset0:44 offset1:66
	ds_load_2addr_b64 v[24:27], v47 offset0:88 offset1:110
	s_wait_alu 0xf1ff
	v_cndmask_b32_e64 v34, 0, 0x42, s0
	global_wb scope:SCOPE_SE
	s_wait_loadcnt_dscnt 0x0
	s_barrier_signal -1
	s_barrier_wait -1
	global_inv scope:SCOPE_SE
	v_dual_mul_f32 v34, v18, v13 :: v_dual_add_nc_u32 v33, v33, v34
	s_delay_alu instid0(VALU_DEP_1)
	v_add_lshl_u32 v48, v42, v33, 3
	v_dual_mul_f32 v33, v19, v13 :: v_dual_mul_f32 v36, v20, v15
	v_mul_f32_e32 v35, v21, v15
	v_dual_mul_f32 v37, v23, v9 :: v_dual_mul_f32 v46, v25, v11
	v_dual_mul_f32 v38, v22, v9 :: v_dual_mul_f32 v49, v24, v11
	v_mul_f32_e32 v50, v27, v32
	v_dual_mul_f32 v51, v26, v32 :: v_dual_fmac_f32 v36, v21, v14
	v_fma_f32 v33, v18, v12, -v33
	v_fmac_f32_e32 v34, v19, v12
	v_fma_f32 v18, v20, v14, -v35
	v_fma_f32 v19, v22, v8, -v37
	v_fmac_f32_e32 v49, v25, v10
	v_fma_f32 v21, v26, v31, -v50
	v_fma_f32 v20, v24, v10, -v46
	v_dual_fmac_f32 v51, v27, v31 :: v_dual_add_f32 v22, v16, v18
	s_delay_alu instid0(VALU_DEP_4) | instskip(NEXT) | instid1(VALU_DEP_4)
	v_sub_f32_e32 v24, v36, v49
	v_add_f32_e32 v35, v19, v21
	v_fmac_f32_e32 v38, v23, v8
	v_add_f32_e32 v23, v18, v20
	v_dual_add_f32 v25, v17, v36 :: v_dual_add_f32 v26, v36, v49
	v_add_f32_e32 v27, v33, v19
	v_fmac_f32_e32 v33, -0.5, v35
	v_sub_f32_e32 v36, v38, v51
	v_add_f32_e32 v37, v34, v38
	v_add_f32_e32 v38, v38, v51
	v_dual_sub_f32 v18, v18, v20 :: v_dual_sub_f32 v19, v19, v21
	v_add_f32_e32 v20, v22, v20
	v_fma_f32 v46, -0.5, v23, v16
	v_add_f32_e32 v22, v25, v49
	v_add_f32_e32 v23, v37, v51
	v_fma_f32 v49, -0.5, v26, v17
	v_dual_add_f32 v21, v27, v21 :: v_dual_fmac_f32 v34, -0.5, v38
	v_fmamk_f32 v25, v24, 0x3f5db3d7, v46
	s_delay_alu instid0(VALU_DEP_4) | instskip(NEXT) | instid1(VALU_DEP_3)
	v_dual_fmac_f32 v46, 0xbf5db3d7, v24 :: v_dual_add_f32 v17, v22, v23
	v_dual_fmamk_f32 v27, v18, 0xbf5db3d7, v49 :: v_dual_fmamk_f32 v26, v19, 0xbf5db3d7, v34
	v_fmamk_f32 v24, v36, 0x3f5db3d7, v33
	v_dual_fmac_f32 v49, 0x3f5db3d7, v18 :: v_dual_fmac_f32 v34, 0x3f5db3d7, v19
	v_fmac_f32_e32 v33, 0xbf5db3d7, v36
	s_delay_alu instid0(VALU_DEP_4) | instskip(NEXT) | instid1(VALU_DEP_3)
	v_dual_mul_f32 v35, 0x3f5db3d7, v26 :: v_dual_add_f32 v16, v20, v21
	v_dual_mul_f32 v37, 0xbf5db3d7, v24 :: v_dual_mul_f32 v38, -0.5, v34
	s_delay_alu instid0(VALU_DEP_2) | instskip(NEXT) | instid1(VALU_DEP_2)
	v_dual_mul_f32 v36, -0.5, v33 :: v_dual_fmac_f32 v35, 0.5, v24
	v_dual_sub_f32 v18, v20, v21 :: v_dual_fmac_f32 v37, 0.5, v26
	s_delay_alu instid0(VALU_DEP_3) | instskip(NEXT) | instid1(VALU_DEP_3)
	v_fmac_f32_e32 v38, 0xbf5db3d7, v33
	v_dual_fmac_f32 v36, 0x3f5db3d7, v34 :: v_dual_sub_f32 v19, v22, v23
	s_delay_alu instid0(VALU_DEP_3) | instskip(NEXT) | instid1(VALU_DEP_2)
	v_dual_add_f32 v20, v25, v35 :: v_dual_add_f32 v21, v27, v37
	v_dual_add_f32 v23, v49, v38 :: v_dual_add_f32 v22, v46, v36
	v_dual_sub_f32 v24, v25, v35 :: v_dual_sub_f32 v25, v27, v37
	v_dual_sub_f32 v26, v46, v36 :: v_dual_sub_f32 v27, v49, v38
	ds_store_2addr_b64 v48, v[16:17], v[20:21] offset1:11
	ds_store_2addr_b64 v48, v[22:23], v[18:19] offset0:22 offset1:33
	ds_store_2addr_b64 v48, v[24:25], v[26:27] offset0:44 offset1:55
	global_wb scope:SCOPE_SE
	s_wait_dscnt 0x0
	s_barrier_signal -1
	s_barrier_wait -1
	global_inv scope:SCOPE_SE
	s_clause 0x2
	global_load_b64 v[37:38], v43, s[2:3] offset:440
	global_load_b64 v[33:34], v43, s[2:3] offset:616
	global_load_b64 v[35:36], v43, s[2:3] offset:792
	ds_load_2addr_b64 v[20:23], v47 offset0:44 offset1:66
	ds_load_2addr_b64 v[16:19], v47 offset0:88 offset1:110
	ds_load_2addr_b64 v[49:52], v47 offset1:22
	v_lshl_add_u32 v46, v41, 3, v44
	s_wait_loadcnt_dscnt 0x1
	v_dual_mul_f32 v26, v17, v34 :: v_dual_mul_f32 v53, v19, v36
	v_mul_f32_e32 v27, v16, v34
	v_mul_f32_e32 v24, v23, v38
	;; [unrolled: 1-line block ×4, first 2 shown]
	v_fma_f32 v16, v16, v33, -v26
	v_fmac_f32_e32 v27, v17, v33
	v_fma_f32 v22, v22, v37, -v24
	v_fmac_f32_e32 v54, v19, v35
	v_fmac_f32_e32 v25, v23, v37
	v_fma_f32 v17, v18, v35, -v53
	s_wait_dscnt 0x0
	v_dual_sub_f32 v26, v51, v16 :: v_dual_sub_f32 v27, v52, v27
	s_delay_alu instid0(VALU_DEP_3) | instskip(NEXT) | instid1(VALU_DEP_3)
	v_dual_sub_f32 v18, v49, v22 :: v_dual_sub_f32 v19, v50, v25
	v_dual_sub_f32 v22, v20, v17 :: v_dual_sub_f32 v23, v21, v54
	s_delay_alu instid0(VALU_DEP_3) | instskip(NEXT) | instid1(VALU_DEP_3)
	v_fma_f32 v24, v51, 2.0, -v26
	v_fma_f32 v16, v49, 2.0, -v18
	s_delay_alu instid0(VALU_DEP_4)
	v_fma_f32 v17, v50, 2.0, -v19
	v_fma_f32 v25, v52, 2.0, -v27
	;; [unrolled: 1-line block ×4, first 2 shown]
	v_add_nc_u32_e32 v49, v43, v44
	ds_store_b64 v46, v[26:27] offset:704
	ds_store_2addr_b64 v46, v[16:17], v[24:25] offset1:22
	ds_store_2addr_b64 v46, v[20:21], v[18:19] offset0:44 offset1:66
	ds_store_b64 v49, v[22:23] offset:880
	global_wb scope:SCOPE_SE
	s_wait_dscnt 0x0
	s_barrier_signal -1
	s_barrier_wait -1
	global_inv scope:SCOPE_SE
	s_and_saveexec_b32 s0, vcc_lo
	s_cbranch_execz .LBB0_9
; %bb.8:
	s_add_nc_u64 s[2:3], s[14:15], 0x420
	s_clause 0xa
	global_load_b64 v[70:71], v43, s[14:15] offset:1056
	global_load_b64 v[72:73], v43, s[2:3] offset:96
	;; [unrolled: 1-line block ×11, first 2 shown]
	ds_load_2addr_b64 v[50:53], v46 offset1:12
	ds_load_2addr_b64 v[54:57], v46 offset0:24 offset1:36
	ds_load_2addr_b64 v[58:61], v46 offset0:48 offset1:60
	;; [unrolled: 1-line block ×4, first 2 shown]
	ds_load_b64 v[92:93], v46 offset:960
	s_wait_loadcnt_dscnt 0xa05
	v_mul_f32_e32 v94, v51, v71
	s_wait_loadcnt 0x9
	v_dual_mul_f32 v95, v50, v71 :: v_dual_mul_f32 v96, v53, v73
	v_mul_f32_e32 v71, v52, v73
	s_wait_loadcnt_dscnt 0x704
	v_dual_mul_f32 v97, v55, v75 :: v_dual_mul_f32 v98, v57, v77
	s_wait_loadcnt_dscnt 0x503
	v_dual_mul_f32 v73, v54, v75 :: v_dual_mul_f32 v100, v61, v81
	v_mul_f32_e32 v75, v56, v77
	s_wait_loadcnt_dscnt 0x302
	v_dual_mul_f32 v99, v59, v79 :: v_dual_mul_f32 v102, v65, v85
	s_wait_loadcnt_dscnt 0x101
	v_dual_mul_f32 v77, v58, v79 :: v_dual_mul_f32 v104, v69, v89
	v_mul_f32_e32 v79, v60, v81
	v_mul_f32_e32 v101, v63, v83
	;; [unrolled: 1-line block ×7, first 2 shown]
	s_wait_loadcnt_dscnt 0x0
	v_mul_f32_e32 v105, v93, v91
	v_mul_f32_e32 v89, v92, v91
	v_fma_f32 v94, v50, v70, -v94
	v_fmac_f32_e32 v95, v51, v70
	v_fma_f32 v70, v52, v72, -v96
	v_fmac_f32_e32 v71, v53, v72
	v_fma_f32 v72, v54, v74, -v97
	v_fmac_f32_e32 v73, v55, v74
	v_fma_f32 v74, v56, v76, -v98
	v_fmac_f32_e32 v75, v57, v76
	v_fma_f32 v76, v58, v78, -v99
	v_fmac_f32_e32 v77, v59, v78
	v_fma_f32 v78, v60, v80, -v100
	v_fmac_f32_e32 v79, v61, v80
	v_fma_f32 v80, v62, v82, -v101
	v_fmac_f32_e32 v81, v63, v82
	v_fma_f32 v82, v64, v84, -v102
	v_fmac_f32_e32 v83, v65, v84
	v_fma_f32 v84, v66, v86, -v103
	v_fmac_f32_e32 v85, v67, v86
	v_fma_f32 v86, v68, v88, -v104
	v_fmac_f32_e32 v87, v69, v88
	v_fma_f32 v88, v92, v90, -v105
	v_fmac_f32_e32 v89, v93, v90
	ds_store_2addr_b64 v46, v[94:95], v[70:71] offset1:12
	ds_store_2addr_b64 v46, v[72:73], v[74:75] offset0:24 offset1:36
	ds_store_2addr_b64 v46, v[76:77], v[78:79] offset0:48 offset1:60
	;; [unrolled: 1-line block ×4, first 2 shown]
	ds_store_b64 v46, v[88:89] offset:960
.LBB0_9:
	s_wait_alu 0xfffe
	s_or_b32 exec_lo, exec_lo, s0
	global_wb scope:SCOPE_SE
	s_wait_dscnt 0x0
	s_barrier_signal -1
	s_barrier_wait -1
	global_inv scope:SCOPE_SE
	s_and_saveexec_b32 s0, vcc_lo
	s_cbranch_execz .LBB0_11
; %bb.10:
	ds_load_2addr_b64 v[16:19], v46 offset1:12
	ds_load_2addr_b64 v[24:27], v46 offset0:24 offset1:36
	ds_load_2addr_b64 v[20:23], v46 offset0:48 offset1:60
	;; [unrolled: 1-line block ×4, first 2 shown]
	ds_load_b64 v[29:30], v46 offset:960
.LBB0_11:
	s_wait_alu 0xfffe
	s_or_b32 exec_lo, exec_lo, s0
	v_add_nc_u32_e32 v49, 0x160, v49
	global_wb scope:SCOPE_SE
	s_wait_dscnt 0x0
	s_barrier_signal -1
	s_barrier_wait -1
	global_inv scope:SCOPE_SE
	s_and_saveexec_b32 s0, vcc_lo
	s_cbranch_execz .LBB0_13
; %bb.12:
	v_dual_add_f32 v56, v30, v19 :: v_dual_add_f32 v59, v3, v25
	v_dual_sub_f32 v58, v18, v29 :: v_dual_add_f32 v61, v1, v27
	v_dual_sub_f32 v60, v24, v2 :: v_dual_sub_f32 v63, v26, v0
	s_delay_alu instid0(VALU_DEP_3) | instskip(SKIP_2) | instid1(VALU_DEP_3)
	v_dual_mul_f32 v62, 0xbf75a155, v56 :: v_dual_sub_f32 v65, v20, v6
	v_dual_add_f32 v64, v7, v21 :: v_dual_add_f32 v67, v5, v23
	v_dual_mul_f32 v66, 0x3f575c64, v59 :: v_dual_sub_f32 v77, v27, v1
	v_dual_fmamk_f32 v50, v58, 0x3e903f40, v62 :: v_dual_sub_f32 v73, v25, v3
	v_dual_sub_f32 v68, v19, v30 :: v_dual_mul_f32 v69, 0xbf27a4f4, v61
	v_dual_mul_f32 v81, 0xbf27a4f4, v56 :: v_dual_sub_f32 v82, v21, v7
	s_delay_alu instid0(VALU_DEP_3) | instskip(SKIP_1) | instid1(VALU_DEP_4)
	v_dual_fmamk_f32 v51, v60, 0xbf0a6770, v66 :: v_dual_add_f32 v50, v17, v50
	v_dual_add_f32 v70, v29, v18 :: v_dual_mul_f32 v71, 0x3ed4b147, v64
	v_dual_mul_f32 v72, 0xbe903f40, v68 :: v_dual_add_f32 v79, v0, v26
	s_delay_alu instid0(VALU_DEP_4) | instskip(SKIP_1) | instid1(VALU_DEP_4)
	v_mul_f32_e32 v108, 0xbf0a6770, v82
	v_mul_f32_e32 v100, 0x3f575c64, v64
	v_dual_add_f32 v50, v51, v50 :: v_dual_fmamk_f32 v51, v65, 0xbf68dda4, v71
	v_dual_add_f32 v74, v2, v24 :: v_dual_mul_f32 v75, 0x3f0a6770, v73
	s_delay_alu instid0(VALU_DEP_3) | instskip(SKIP_4) | instid1(VALU_DEP_4)
	v_fmamk_f32 v102, v65, 0x3f0a6770, v100
	v_fmamk_f32 v52, v63, 0x3f4178ce, v69
	;; [unrolled: 1-line block ×3, first 2 shown]
	v_dual_mul_f32 v80, 0xbf4178ce, v77 :: v_dual_mul_f32 v91, 0xbf4178ce, v68
	v_sub_f32_e32 v78, v22, v4
	v_add_f32_e32 v50, v52, v50
	s_delay_alu instid0(VALU_DEP_4) | instskip(SKIP_2) | instid1(VALU_DEP_3)
	v_dual_add_f32 v52, v16, v53 :: v_dual_fmamk_f32 v53, v74, 0x3f575c64, v75
	v_dual_mul_f32 v83, 0xbe11bafb, v59 :: v_dual_add_f32 v84, v6, v20
	v_mul_f32_e32 v97, 0xbe903f40, v82
	v_dual_mul_f32 v85, 0x3f68dda4, v82 :: v_dual_add_f32 v52, v53, v52
	v_fmamk_f32 v53, v79, 0xbf27a4f4, v80
	v_add_f32_e32 v50, v51, v50
	v_mul_f32_e32 v76, 0xbe11bafb, v67
	v_dual_mul_f32 v87, 0x3f575c64, v61 :: v_dual_add_f32 v88, v4, v22
	v_dual_mul_f32 v116, 0x3f575c64, v56 :: v_dual_add_f32 v19, v19, v17
	s_delay_alu instid0(VALU_DEP_3) | instskip(SKIP_2) | instid1(VALU_DEP_4)
	v_fmamk_f32 v51, v78, 0x3f7d64f0, v76
	v_mul_f32_e32 v93, 0x3f7d64f0, v73
	v_mul_f32_e32 v94, 0xbe11bafb, v56
	v_dual_mul_f32 v104, 0x3e903f40, v73 :: v_dual_add_f32 v19, v25, v19
	s_delay_alu instid0(VALU_DEP_4) | instskip(SKIP_4) | instid1(VALU_DEP_4)
	v_dual_add_f32 v51, v51, v50 :: v_dual_add_f32 v50, v53, v52
	v_fmamk_f32 v52, v58, 0x3f4178ce, v81
	v_fmamk_f32 v53, v60, 0xbf7d64f0, v83
	v_mul_f32_e32 v90, 0xbf75a155, v64
	v_dual_sub_f32 v86, v23, v5 :: v_dual_fmamk_f32 v55, v74, 0xbe11bafb, v93
	v_add_f32_e32 v52, v17, v52
	v_dual_mul_f32 v96, 0xbf75a155, v59 :: v_dual_fmamk_f32 v105, v74, 0xbf75a155, v104
	v_mul_f32_e32 v106, 0x3f68dda4, v77
	v_mul_f32_e32 v98, 0x3ed4b147, v61
	s_delay_alu instid0(VALU_DEP_4) | instskip(SKIP_3) | instid1(VALU_DEP_4)
	v_dual_add_f32 v52, v53, v52 :: v_dual_fmamk_f32 v53, v63, 0x3f0a6770, v87
	v_mul_f32_e32 v92, 0x3ed4b147, v67
	v_fmamk_f32 v57, v60, 0xbe903f40, v96
	v_mul_f32_e32 v95, 0xbf0a6770, v77
	v_dual_mul_f32 v117, 0x3e903f40, v77 :: v_dual_add_f32 v52, v53, v52
	v_fmamk_f32 v53, v65, 0x3e903f40, v90
	v_mul_f32_e32 v89, 0xbf7d64f0, v86
	v_mul_f32_e32 v110, 0xbf75a155, v61
	;; [unrolled: 1-line block ×4, first 2 shown]
	v_dual_add_f32 v52, v53, v52 :: v_dual_fmamk_f32 v53, v78, 0xbf68dda4, v92
	v_fmamk_f32 v54, v84, 0x3ed4b147, v85
	v_mul_f32_e32 v103, 0xbf27a4f4, v67
	v_mul_f32_e32 v111, 0xbf4178ce, v86
	;; [unrolled: 1-line block ×3, first 2 shown]
	v_dual_add_f32 v53, v53, v52 :: v_dual_fmamk_f32 v52, v58, 0x3f7d64f0, v94
	v_dual_add_f32 v50, v54, v50 :: v_dual_mul_f32 v61, 0xbe11bafb, v61
	v_mul_f32_e32 v118, 0x3f7d64f0, v82
	v_mul_f32_e32 v25, 0xbf0a6770, v68
	s_delay_alu instid0(VALU_DEP_4) | instskip(SKIP_2) | instid1(VALU_DEP_3)
	v_dual_add_f32 v52, v17, v52 :: v_dual_mul_f32 v99, 0x3f68dda4, v86
	v_add_f32_e32 v19, v27, v19
	v_fmac_f32_e32 v71, 0x3f68dda4, v65
	v_dual_fmac_f32 v69, 0xbf4178ce, v63 :: v_dual_add_f32 v52, v57, v52
	v_fmamk_f32 v57, v63, 0xbf68dda4, v98
	s_delay_alu instid0(VALU_DEP_4) | instskip(SKIP_2) | instid1(VALU_DEP_3)
	v_dual_fmamk_f32 v54, v88, 0xbe11bafb, v89 :: v_dual_add_f32 v19, v21, v19
	v_mul_f32_e32 v107, 0xbf27a4f4, v59
	v_mul_f32_e32 v59, 0x3ed4b147, v59
	v_dual_add_f32 v57, v57, v52 :: v_dual_add_f32 v50, v54, v50
	v_fmamk_f32 v54, v70, 0xbf27a4f4, v91
	s_delay_alu instid0(VALU_DEP_4) | instskip(NEXT) | instid1(VALU_DEP_4)
	v_fmamk_f32 v109, v60, 0x3f4178ce, v107
	v_dual_fmamk_f32 v119, v60, 0x3f68dda4, v59 :: v_dual_add_f32 v18, v18, v16
	v_mul_f32_e32 v120, 0x3f0a6770, v86
	s_delay_alu instid0(VALU_DEP_4) | instskip(SKIP_1) | instid1(VALU_DEP_4)
	v_add_f32_e32 v54, v16, v54
	v_fmac_f32_e32 v62, 0xbe903f40, v58
	v_dual_mul_f32 v67, 0xbf75a155, v67 :: v_dual_add_f32 v18, v24, v18
	v_fmac_f32_e32 v66, 0x3f0a6770, v60
	s_delay_alu instid0(VALU_DEP_4) | instskip(SKIP_4) | instid1(VALU_DEP_4)
	v_add_f32_e32 v54, v55, v54
	v_fmamk_f32 v55, v79, 0x3f575c64, v95
	v_fmac_f32_e32 v76, 0xbf7d64f0, v78
	v_add_f32_e32 v18, v26, v18
	v_dual_mul_f32 v26, 0xbf7d64f0, v77 :: v_dual_add_f32 v19, v23, v19
	v_dual_add_f32 v54, v55, v54 :: v_dual_fmamk_f32 v55, v84, 0xbf75a155, v97
	s_delay_alu instid0(VALU_DEP_3) | instskip(NEXT) | instid1(VALU_DEP_3)
	v_dual_add_f32 v18, v20, v18 :: v_dual_fmac_f32 v87, 0xbf0a6770, v63
	v_dual_add_f32 v19, v5, v19 :: v_dual_fmac_f32 v90, 0xbe903f40, v65
	s_delay_alu instid0(VALU_DEP_3) | instskip(NEXT) | instid1(VALU_DEP_2)
	v_dual_add_f32 v54, v55, v54 :: v_dual_fmamk_f32 v55, v88, 0x3ed4b147, v99
	v_dual_add_f32 v18, v22, v18 :: v_dual_add_f32 v7, v7, v19
	v_mul_f32_e32 v22, 0xbe903f40, v86
	v_fma_f32 v19, 0xbe11bafb, v74, -v93
	s_delay_alu instid0(VALU_DEP_4)
	v_dual_add_f32 v52, v55, v54 :: v_dual_add_f32 v55, v102, v57
	v_fmamk_f32 v57, v78, 0x3f4178ce, v103
	v_mul_f32_e32 v102, 0x3ed4b147, v56
	v_add_f32_e32 v4, v4, v18
	v_fmamk_f32 v24, v70, 0x3f575c64, v25
	v_mul_f32_e32 v27, 0xbf68dda4, v73
	v_add_f32_e32 v55, v57, v55
	v_fmamk_f32 v57, v58, 0x3f68dda4, v102
	v_add_f32_e32 v4, v6, v4
	v_dual_add_f32 v6, v17, v62 :: v_dual_add_f32 v21, v16, v24
	s_delay_alu instid0(VALU_DEP_3) | instskip(SKIP_3) | instid1(VALU_DEP_3)
	v_dual_fmamk_f32 v20, v78, 0x3e903f40, v67 :: v_dual_add_f32 v57, v17, v57
	v_fmamk_f32 v54, v70, 0xbe11bafb, v101
	v_fmamk_f32 v24, v74, 0x3ed4b147, v27
	v_dual_fmamk_f32 v23, v79, 0xbe11bafb, v26 :: v_dual_add_f32 v0, v0, v4
	v_dual_add_f32 v57, v109, v57 :: v_dual_add_f32 v54, v16, v54
	v_fmamk_f32 v109, v63, 0xbe903f40, v110
	s_delay_alu instid0(VALU_DEP_4) | instskip(NEXT) | instid1(VALU_DEP_4)
	v_add_f32_e32 v21, v24, v21
	v_dual_add_f32 v1, v1, v7 :: v_dual_add_f32 v0, v2, v0
	s_delay_alu instid0(VALU_DEP_4) | instskip(NEXT) | instid1(VALU_DEP_4)
	v_add_f32_e32 v54, v105, v54
	v_add_f32_e32 v57, v109, v57
	v_fmamk_f32 v109, v65, 0xbf7d64f0, v112
	s_delay_alu instid0(VALU_DEP_4) | instskip(SKIP_2) | instid1(VALU_DEP_4)
	v_dual_fmamk_f32 v105, v79, 0x3ed4b147, v106 :: v_dual_add_f32 v0, v29, v0
	v_fma_f32 v24, 0xbf75a155, v74, -v104
	v_fmac_f32_e32 v107, 0xbf4178ce, v60
	v_add_f32_e32 v57, v109, v57
	s_delay_alu instid0(VALU_DEP_4) | instskip(SKIP_3) | instid1(VALU_DEP_4)
	v_dual_fmamk_f32 v109, v78, 0xbf0a6770, v114 :: v_dual_add_f32 v54, v105, v54
	v_fmamk_f32 v105, v84, 0x3f575c64, v108
	v_fmac_f32_e32 v96, 0x3e903f40, v60
	v_fmac_f32_e32 v100, 0xbf0a6770, v65
	v_add_f32_e32 v57, v109, v57
	s_delay_alu instid0(VALU_DEP_4) | instskip(SKIP_3) | instid1(VALU_DEP_4)
	v_dual_fmamk_f32 v109, v58, 0x3f0a6770, v116 :: v_dual_add_f32 v54, v105, v54
	v_fmamk_f32 v105, v88, 0xbf27a4f4, v111
	v_mul_f32_e32 v113, 0xbf68dda4, v68
	v_fmac_f32_e32 v112, 0x3f7d64f0, v65
	v_dual_add_f32 v109, v17, v109 :: v_dual_fmac_f32 v114, 0x3f0a6770, v78
	s_delay_alu instid0(VALU_DEP_4) | instskip(SKIP_2) | instid1(VALU_DEP_4)
	v_add_f32_e32 v54, v105, v54
	v_fmac_f32_e32 v98, 0x3f68dda4, v63
	v_fmac_f32_e32 v67, 0xbe903f40, v78
	v_add_f32_e32 v109, v119, v109
	v_fmamk_f32 v119, v63, 0x3f7d64f0, v61
	v_mul_f32_e32 v64, 0xbf27a4f4, v64
	v_fmac_f32_e32 v61, 0xbf7d64f0, v63
	s_delay_alu instid0(VALU_DEP_3) | instskip(NEXT) | instid1(VALU_DEP_3)
	v_dual_fmac_f32 v116, 0xbf0a6770, v58 :: v_dual_add_f32 v109, v119, v109
	v_fmamk_f32 v119, v65, 0x3f4178ce, v64
	v_fmamk_f32 v105, v70, 0x3ed4b147, v113
	v_fmac_f32_e32 v64, 0xbf4178ce, v65
	s_delay_alu instid0(VALU_DEP_3) | instskip(NEXT) | instid1(VALU_DEP_3)
	v_add_f32_e32 v68, v119, v109
	v_add_f32_e32 v56, v16, v105
	v_mul_f32_e32 v115, 0xbf4178ce, v73
	s_delay_alu instid0(VALU_DEP_3) | instskip(NEXT) | instid1(VALU_DEP_2)
	v_dual_add_f32 v5, v20, v68 :: v_dual_mul_f32 v20, 0xbf4178ce, v82
	v_fmamk_f32 v105, v74, 0xbf27a4f4, v115
	s_delay_alu instid0(VALU_DEP_2) | instskip(NEXT) | instid1(VALU_DEP_2)
	v_dual_add_f32 v21, v23, v21 :: v_dual_fmamk_f32 v18, v84, 0xbf27a4f4, v20
	v_dual_add_f32 v56, v105, v56 :: v_dual_fmamk_f32 v105, v79, 0xbf75a155, v117
	v_fma_f32 v20, 0xbf27a4f4, v84, -v20
	s_delay_alu instid0(VALU_DEP_3) | instskip(NEXT) | instid1(VALU_DEP_3)
	v_dual_add_f32 v7, v18, v21 :: v_dual_fmamk_f32 v18, v88, 0xbf75a155, v22
	v_dual_add_f32 v56, v105, v56 :: v_dual_fmamk_f32 v105, v84, 0xbe11bafb, v118
	v_add_f32_e32 v1, v3, v1
	v_add_f32_e32 v3, v66, v6
	v_fma_f32 v6, 0xbf75a155, v70, -v72
	v_fma_f32 v21, 0x3f575c64, v79, -v95
	v_dual_add_f32 v56, v105, v56 :: v_dual_fmamk_f32 v105, v88, 0x3f575c64, v120
	s_delay_alu instid0(VALU_DEP_4) | instskip(NEXT) | instid1(VALU_DEP_4)
	v_dual_add_f32 v2, v69, v3 :: v_dual_fmac_f32 v81, 0xbf4178ce, v58
	v_add_f32_e32 v3, v16, v6
	v_fma_f32 v6, 0x3f575c64, v74, -v75
	v_add_f32_e32 v4, v18, v7
	v_add_f32_e32 v1, v30, v1
	v_add_f32_e32 v18, v17, v81
	v_fma_f32 v7, 0xbf27a4f4, v79, -v80
	v_add_f32_e32 v6, v6, v3
	v_dual_add_f32 v2, v71, v2 :: v_dual_fmac_f32 v83, 0x3f7d64f0, v60
	v_fma_f32 v30, 0xbf27a4f4, v74, -v115
	v_fmac_f32_e32 v103, 0xbf4178ce, v78
	s_delay_alu instid0(VALU_DEP_4) | instskip(NEXT) | instid1(VALU_DEP_4)
	v_add_f32_e32 v6, v7, v6
	v_add_f32_e32 v3, v76, v2
	v_fma_f32 v2, 0xbf27a4f4, v70, -v91
	v_fma_f32 v7, 0x3ed4b147, v84, -v85
	v_add_f32_e32 v18, v83, v18
	v_fmac_f32_e32 v110, 0x3e903f40, v63
	v_fmac_f32_e32 v92, 0x3f68dda4, v78
	v_add_f32_e32 v2, v16, v2
	v_add_f32_e32 v6, v7, v6
	v_fma_f32 v7, 0xbe11bafb, v88, -v89
	v_add_f32_e32 v18, v87, v18
	s_delay_alu instid0(VALU_DEP_4) | instskip(SKIP_1) | instid1(VALU_DEP_4)
	v_dual_add_f32 v56, v105, v56 :: v_dual_add_f32 v19, v19, v2
	v_dual_fmac_f32 v102, 0xbf68dda4, v58 :: v_dual_fmac_f32 v59, 0xbf68dda4, v60
	v_add_f32_e32 v2, v7, v6
	s_delay_alu instid0(VALU_DEP_4) | instskip(NEXT) | instid1(VALU_DEP_4)
	v_add_f32_e32 v6, v90, v18
	v_add_f32_e32 v18, v21, v19
	v_fma_f32 v19, 0xbf75a155, v84, -v97
	v_fma_f32 v22, 0xbf75a155, v88, -v22
	s_delay_alu instid0(VALU_DEP_4) | instskip(SKIP_1) | instid1(VALU_DEP_4)
	v_add_f32_e32 v7, v92, v6
	v_fma_f32 v6, 0xbe11bafb, v70, -v101
	v_add_f32_e32 v18, v19, v18
	v_fma_f32 v19, 0x3ed4b147, v88, -v99
	s_delay_alu instid0(VALU_DEP_3) | instskip(NEXT) | instid1(VALU_DEP_1)
	v_add_f32_e32 v23, v16, v6
	v_dual_add_f32 v6, v19, v18 :: v_dual_add_f32 v19, v24, v23
	v_add_f32_e32 v23, v17, v102
	v_fmac_f32_e32 v94, 0xbf7d64f0, v58
	v_fma_f32 v24, 0x3f575c64, v84, -v108
	s_delay_alu instid0(VALU_DEP_3) | instskip(NEXT) | instid1(VALU_DEP_3)
	v_add_f32_e32 v23, v107, v23
	v_add_f32_e32 v21, v17, v94
	;; [unrolled: 1-line block ×3, first 2 shown]
	s_delay_alu instid0(VALU_DEP_2) | instskip(NEXT) | instid1(VALU_DEP_2)
	v_add_f32_e32 v21, v96, v21
	v_add_f32_e32 v17, v59, v17
	s_delay_alu instid0(VALU_DEP_2) | instskip(SKIP_1) | instid1(VALU_DEP_1)
	v_add_f32_e32 v18, v98, v21
	v_fma_f32 v21, 0x3ed4b147, v79, -v106
	v_dual_add_f32 v18, v100, v18 :: v_dual_add_f32 v21, v21, v19
	s_delay_alu instid0(VALU_DEP_1) | instskip(SKIP_1) | instid1(VALU_DEP_3)
	v_add_f32_e32 v19, v103, v18
	v_fma_f32 v18, 0x3ed4b147, v70, -v113
	v_add_f32_e32 v21, v24, v21
	v_fma_f32 v24, 0xbf27a4f4, v88, -v111
	v_add_f32_e32 v23, v110, v23
	s_delay_alu instid0(VALU_DEP_4) | instskip(NEXT) | instid1(VALU_DEP_3)
	v_add_f32_e32 v29, v16, v18
	v_add_f32_e32 v18, v24, v21
	s_delay_alu instid0(VALU_DEP_3) | instskip(SKIP_1) | instid1(VALU_DEP_4)
	v_add_f32_e32 v21, v112, v23
	v_fma_f32 v23, 0x3f575c64, v70, -v25
	v_add_f32_e32 v24, v30, v29
	v_fma_f32 v25, 0xbf75a155, v79, -v117
	s_delay_alu instid0(VALU_DEP_3) | instskip(SKIP_1) | instid1(VALU_DEP_3)
	v_add_f32_e32 v16, v16, v23
	v_fma_f32 v23, 0x3ed4b147, v74, -v27
	v_add_f32_e32 v24, v25, v24
	v_fma_f32 v25, 0xbe11bafb, v84, -v118
	s_delay_alu instid0(VALU_DEP_1) | instskip(NEXT) | instid1(VALU_DEP_4)
	v_dual_add_f32 v24, v25, v24 :: v_dual_and_b32 v25, 0xffff, v45
	v_add_f32_e32 v16, v23, v16
	v_fma_f32 v23, 0xbe11bafb, v79, -v26
	v_add_f32_e32 v17, v61, v17
	s_delay_alu instid0(VALU_DEP_4) | instskip(NEXT) | instid1(VALU_DEP_3)
	v_lshl_add_u32 v25, v25, 3, v44
	v_add_f32_e32 v16, v23, v16
	v_fma_f32 v23, 0x3f575c64, v88, -v120
	s_delay_alu instid0(VALU_DEP_4) | instskip(NEXT) | instid1(VALU_DEP_3)
	v_add_f32_e32 v26, v64, v17
	v_dual_add_f32 v17, v114, v21 :: v_dual_add_f32 v20, v20, v16
	s_delay_alu instid0(VALU_DEP_3) | instskip(NEXT) | instid1(VALU_DEP_2)
	v_add_f32_e32 v16, v23, v24
	v_dual_add_f32 v21, v67, v26 :: v_dual_add_f32 v20, v22, v20
	ds_store_2addr_b64 v25, v[0:1], v[4:5] offset1:1
	ds_store_2addr_b64 v25, v[56:57], v[54:55] offset0:2 offset1:3
	ds_store_2addr_b64 v25, v[52:53], v[50:51] offset0:4 offset1:5
	;; [unrolled: 1-line block ×4, first 2 shown]
	ds_store_b64 v25, v[20:21] offset:80
.LBB0_13:
	s_wait_alu 0xfffe
	s_or_b32 exec_lo, exec_lo, s0
	global_wb scope:SCOPE_SE
	s_wait_dscnt 0x0
	s_barrier_signal -1
	s_barrier_wait -1
	global_inv scope:SCOPE_SE
	ds_load_2addr_b64 v[0:3], v47 offset1:22
	ds_load_2addr_b64 v[4:7], v47 offset0:44 offset1:66
	ds_load_2addr_b64 v[16:19], v47 offset0:88 offset1:110
	global_wb scope:SCOPE_SE
	s_wait_dscnt 0x0
	s_barrier_signal -1
	s_barrier_wait -1
	global_inv scope:SCOPE_SE
	v_dual_mul_f32 v20, v13, v3 :: v_dual_mul_f32 v21, v15, v5
	v_dual_mul_f32 v13, v13, v2 :: v_dual_mul_f32 v24, v32, v19
	;; [unrolled: 1-line block ×3, first 2 shown]
	s_delay_alu instid0(VALU_DEP_3) | instskip(SKIP_1) | instid1(VALU_DEP_4)
	v_dual_mul_f32 v23, v11, v17 :: v_dual_fmac_f32 v20, v12, v2
	v_mul_f32_e32 v11, v11, v16
	v_fma_f32 v2, v12, v3, -v13
	s_delay_alu instid0(VALU_DEP_4)
	v_dual_fmac_f32 v22, v8, v6 :: v_dual_fmac_f32 v21, v14, v4
	v_fmac_f32_e32 v24, v31, v18
	v_fma_f32 v3, v14, v5, -v15
	v_fmac_f32_e32 v23, v10, v16
	v_mul_f32_e32 v25, v32, v18
	v_fma_f32 v5, v10, v17, -v11
	s_delay_alu instid0(VALU_DEP_1) | instskip(NEXT) | instid1(VALU_DEP_1)
	v_dual_mul_f32 v9, v9, v6 :: v_dual_add_f32 v10, v3, v5
	v_fma_f32 v4, v8, v7, -v9
	v_add_f32_e32 v8, v21, v23
	v_fma_f32 v6, v31, v19, -v25
	v_sub_f32_e32 v9, v3, v5
	v_fma_f32 v13, -0.5, v10, v1
	s_delay_alu instid0(VALU_DEP_4) | instskip(SKIP_2) | instid1(VALU_DEP_1)
	v_fma_f32 v12, -0.5, v8, v0
	v_add_f32_e32 v7, v0, v21
	v_dual_add_f32 v3, v1, v3 :: v_dual_add_f32 v0, v4, v6
	v_dual_sub_f32 v11, v21, v23 :: v_dual_add_f32 v14, v3, v5
	v_add_f32_e32 v3, v2, v4
	s_delay_alu instid0(VALU_DEP_3) | instskip(SKIP_4) | instid1(VALU_DEP_2)
	v_fmac_f32_e32 v2, -0.5, v0
	v_dual_fmamk_f32 v8, v9, 0xbf5db3d7, v12 :: v_dual_add_f32 v7, v7, v23
	v_sub_f32_e32 v0, v22, v24
	v_dual_add_f32 v1, v22, v24 :: v_dual_fmac_f32 v12, 0x3f5db3d7, v9
	v_fmamk_f32 v9, v11, 0x3f5db3d7, v13
	v_dual_add_f32 v5, v20, v22 :: v_dual_fmac_f32 v20, -0.5, v1
	v_sub_f32_e32 v1, v4, v6
	v_fmamk_f32 v4, v0, 0x3f5db3d7, v2
	v_fmac_f32_e32 v2, 0xbf5db3d7, v0
	s_delay_alu instid0(VALU_DEP_4) | instskip(NEXT) | instid1(VALU_DEP_4)
	v_add_f32_e32 v10, v5, v24
	v_fmamk_f32 v5, v1, 0xbf5db3d7, v20
	v_fmac_f32_e32 v20, 0x3f5db3d7, v1
	s_delay_alu instid0(VALU_DEP_4) | instskip(SKIP_2) | instid1(VALU_DEP_3)
	v_dual_mul_f32 v18, -0.5, v2 :: v_dual_fmac_f32 v13, 0xbf5db3d7, v11
	v_dual_add_f32 v16, v3, v6 :: v_dual_mul_f32 v11, 0xbf5db3d7, v4
	v_add_f32_e32 v0, v7, v10
	v_fmac_f32_e32 v18, 0x3f5db3d7, v20
	s_delay_alu instid0(VALU_DEP_3) | instskip(NEXT) | instid1(VALU_DEP_4)
	v_dual_sub_f32 v6, v7, v10 :: v_dual_sub_f32 v7, v14, v16
	v_fmac_f32_e32 v11, 0.5, v5
	s_delay_alu instid0(VALU_DEP_1) | instskip(NEXT) | instid1(VALU_DEP_1)
	v_dual_mul_f32 v15, 0xbf5db3d7, v2 :: v_dual_add_f32 v2, v8, v11
	v_fmac_f32_e32 v15, -0.5, v20
	v_mul_f32_e32 v17, 0.5, v4
	v_dual_add_f32 v1, v14, v16 :: v_dual_sub_f32 v8, v8, v11
	s_delay_alu instid0(VALU_DEP_3) | instskip(NEXT) | instid1(VALU_DEP_3)
	v_dual_sub_f32 v11, v13, v18 :: v_dual_add_f32 v4, v12, v15
	v_fmac_f32_e32 v17, 0x3f5db3d7, v5
	v_dual_add_f32 v5, v13, v18 :: v_dual_sub_f32 v10, v12, v15
	s_delay_alu instid0(VALU_DEP_2)
	v_add_f32_e32 v3, v9, v17
	v_sub_f32_e32 v9, v9, v17
	ds_store_2addr_b64 v48, v[0:1], v[2:3] offset1:11
	ds_store_2addr_b64 v48, v[4:5], v[6:7] offset0:22 offset1:33
	ds_store_2addr_b64 v48, v[8:9], v[10:11] offset0:44 offset1:55
	global_wb scope:SCOPE_SE
	s_wait_dscnt 0x0
	s_barrier_signal -1
	s_barrier_wait -1
	global_inv scope:SCOPE_SE
	ds_load_2addr_b64 v[0:3], v47 offset0:44 offset1:66
	ds_load_2addr_b64 v[4:7], v47 offset0:88 offset1:110
	ds_load_2addr_b64 v[8:11], v47 offset1:22
	s_wait_dscnt 0x2
	v_mul_f32_e32 v12, v38, v3
	s_wait_dscnt 0x1
	v_mul_f32_e32 v14, v34, v5
	v_mul_f32_e32 v13, v38, v2
	;; [unrolled: 1-line block ×3, first 2 shown]
	v_fmac_f32_e32 v12, v37, v2
	s_delay_alu instid0(VALU_DEP_4) | instskip(NEXT) | instid1(VALU_DEP_4)
	v_dual_fmac_f32 v14, v33, v4 :: v_dual_mul_f32 v15, v36, v7
	v_fma_f32 v3, v37, v3, -v13
	s_wait_dscnt 0x0
	s_delay_alu instid0(VALU_DEP_2) | instskip(NEXT) | instid1(VALU_DEP_3)
	v_dual_sub_f32 v2, v8, v12 :: v_dual_fmac_f32 v15, v35, v6
	v_sub_f32_e32 v6, v10, v14
	v_mul_f32_e32 v13, v34, v4
	v_sub_f32_e32 v3, v9, v3
	s_delay_alu instid0(VALU_DEP_4) | instskip(SKIP_4) | instid1(VALU_DEP_4)
	v_fma_f32 v4, v8, 2.0, -v2
	v_sub_f32_e32 v12, v0, v15
	v_fma_f32 v8, v10, 2.0, -v6
	v_fma_f32 v5, v33, v5, -v13
	v_fma_f32 v13, v35, v7, -v16
	v_fma_f32 v0, v0, 2.0, -v12
	s_delay_alu instid0(VALU_DEP_3) | instskip(NEXT) | instid1(VALU_DEP_3)
	v_sub_f32_e32 v7, v11, v5
	v_sub_f32_e32 v13, v1, v13
	v_fma_f32 v5, v9, 2.0, -v3
	s_delay_alu instid0(VALU_DEP_3) | instskip(NEXT) | instid1(VALU_DEP_3)
	v_fma_f32 v9, v11, 2.0, -v7
	v_fma_f32 v1, v1, 2.0, -v13
	ds_store_2addr_b64 v46, v[4:5], v[8:9] offset1:22
	ds_store_b64 v46, v[6:7] offset:704
	ds_store_2addr_b64 v46, v[0:1], v[2:3] offset0:44 offset1:66
	ds_store_b64 v49, v[12:13] offset:528
	global_wb scope:SCOPE_SE
	s_wait_dscnt 0x0
	s_barrier_signal -1
	s_barrier_wait -1
	global_inv scope:SCOPE_SE
	s_and_b32 exec_lo, exec_lo, vcc_lo
	s_cbranch_execz .LBB0_15
; %bb.14:
	s_clause 0xa
	global_load_b64 v[20:21], v43, s[14:15]
	global_load_b64 v[22:23], v43, s[14:15] offset:96
	global_load_b64 v[24:25], v43, s[14:15] offset:192
	;; [unrolled: 1-line block ×10, first 2 shown]
	v_mad_co_u64_u32 v[12:13], null, s6, v28, 0
	v_mad_co_u64_u32 v[49:50], null, s4, v41, 0
	v_lshl_add_u32 v16, v42, 3, v43
	s_mov_b32 s2, 0xf07c1f08
	s_mov_b32 s3, 0x3f7f07c1
	s_mul_u64 s[0:1], s[4:5], 0x60
	s_delay_alu instid0(VALU_DEP_3) | instskip(NEXT) | instid1(VALU_DEP_1)
	v_mov_b32_e32 v0, v13
	v_mad_co_u64_u32 v[8:9], null, s7, v28, v[0:1]
	ds_load_b64 v[42:43], v46
	ds_load_2addr_b64 v[0:3], v16 offset0:12 offset1:24
	v_mov_b32_e32 v4, v50
	s_delay_alu instid0(VALU_DEP_1)
	v_mad_co_u64_u32 v[14:15], null, s5, v41, v[4:5]
	v_mov_b32_e32 v13, v8
	ds_load_2addr_b64 v[4:7], v16 offset0:36 offset1:48
	ds_load_2addr_b64 v[8:11], v16 offset0:60 offset1:72
	v_lshlrev_b64_e32 v[51:52], 3, v[12:13]
	v_mov_b32_e32 v50, v14
	ds_load_2addr_b64 v[12:15], v16 offset0:84 offset1:96
	ds_load_2addr_b64 v[16:19], v16 offset0:108 offset1:120
	v_add_co_u32 v61, vcc_lo, s12, v51
	v_add_co_ci_u32_e32 v62, vcc_lo, s13, v52, vcc_lo
	s_wait_loadcnt_dscnt 0xa05
	v_mul_f32_e32 v28, v43, v21
	v_mul_f32_e32 v21, v42, v21
	s_wait_loadcnt_dscnt 0x904
	v_mul_f32_e32 v41, v1, v23
	s_wait_loadcnt_dscnt 0x603
	v_dual_mul_f32 v23, v0, v23 :: v_dual_mul_f32 v52, v7, v30
	v_mul_f32_e32 v46, v3, v25
	v_mul_f32_e32 v25, v2, v25
	v_mul_f32_e32 v51, v5, v27
	v_dual_mul_f32 v27, v4, v27 :: v_dual_mul_f32 v30, v6, v30
	s_wait_loadcnt_dscnt 0x502
	v_mul_f32_e32 v53, v9, v32
	v_mul_f32_e32 v32, v8, v32
	s_wait_loadcnt_dscnt 0x301
	v_dual_mul_f32 v54, v11, v34 :: v_dual_mul_f32 v55, v13, v36
	v_fmac_f32_e32 v28, v42, v20
	v_fma_f32 v20, v20, v43, -v21
	s_wait_loadcnt_dscnt 0x100
	v_dual_mul_f32 v34, v10, v34 :: v_dual_mul_f32 v57, v17, v45
	s_wait_loadcnt 0x0
	v_dual_mul_f32 v58, v19, v48 :: v_dual_fmac_f32 v41, v0, v22
	v_fma_f32 v21, v22, v1, -v23
	v_mul_f32_e32 v36, v12, v36
	v_fmac_f32_e32 v46, v2, v24
	v_fma_f32 v22, v24, v3, -v25
	v_dual_mul_f32 v56, v15, v38 :: v_dual_mul_f32 v45, v16, v45
	v_dual_mul_f32 v38, v14, v38 :: v_dual_fmac_f32 v53, v8, v31
	v_dual_mul_f32 v48, v18, v48 :: v_dual_fmac_f32 v51, v4, v26
	v_fma_f32 v23, v26, v5, -v27
	v_dual_fmac_f32 v52, v6, v29 :: v_dual_fmac_f32 v57, v16, v44
	v_fma_f32 v24, v29, v7, -v30
	v_fma_f32 v25, v31, v9, -v32
	v_fmac_f32_e32 v55, v12, v35
	v_cvt_f64_f32_e32 v[0:1], v28
	v_cvt_f64_f32_e32 v[2:3], v20
	v_fmac_f32_e32 v54, v10, v33
	v_fma_f32 v26, v33, v11, -v34
	v_cvt_f64_f32_e32 v[4:5], v41
	v_cvt_f64_f32_e32 v[6:7], v21
	v_fma_f32 v30, v35, v13, -v36
	v_cvt_f64_f32_e32 v[8:9], v46
	v_cvt_f64_f32_e32 v[10:11], v22
	v_fmac_f32_e32 v56, v14, v37
	v_fma_f32 v34, v37, v15, -v38
	v_cvt_f64_f32_e32 v[12:13], v51
	v_cvt_f64_f32_e32 v[14:15], v23
	v_fma_f32 v38, v44, v17, -v45
	v_fmac_f32_e32 v58, v18, v47
	v_fma_f32 v45, v47, v19, -v48
	v_cvt_f64_f32_e32 v[16:17], v52
	v_cvt_f64_f32_e32 v[18:19], v24
	;; [unrolled: 1-line block ×14, first 2 shown]
	v_lshlrev_b64_e32 v[49:50], 3, v[49:50]
	v_mad_co_u64_u32 v[53:54], null, s4, v40, 0
	s_delay_alu instid0(VALU_DEP_2)
	v_add_co_u32 v47, vcc_lo, v61, v49
	s_wait_alu 0xfffe
	v_mul_f64_e32 v[0:1], s[2:3], v[0:1]
	v_mul_f64_e32 v[2:3], s[2:3], v[2:3]
	s_wait_alu 0xfffd
	v_add_co_ci_u32_e32 v48, vcc_lo, v62, v50, vcc_lo
	v_mul_f64_e32 v[4:5], s[2:3], v[4:5]
	v_mul_f64_e32 v[6:7], s[2:3], v[6:7]
	v_add_co_u32 v51, vcc_lo, v47, s0
	v_mul_f64_e32 v[8:9], s[2:3], v[8:9]
	v_mul_f64_e32 v[10:11], s[2:3], v[10:11]
	s_wait_alu 0xfffd
	v_add_co_ci_u32_e32 v52, vcc_lo, s1, v48, vcc_lo
	v_mul_f64_e32 v[12:13], s[2:3], v[12:13]
	v_mul_f64_e32 v[14:15], s[2:3], v[14:15]
	v_add_co_u32 v55, vcc_lo, v51, s0
	v_mul_f64_e32 v[16:17], s[2:3], v[16:17]
	v_mul_f64_e32 v[18:19], s[2:3], v[18:19]
	;; [unrolled: 1-line block ×14, first 2 shown]
	s_wait_alu 0xfffd
	v_add_co_ci_u32_e32 v56, vcc_lo, s1, v52, vcc_lo
	v_add_co_u32 v57, vcc_lo, v55, s0
	v_mad_co_u64_u32 v[49:50], null, s4, v39, 0
	s_wait_alu 0xfffd
	s_delay_alu instid0(VALU_DEP_3) | instskip(SKIP_3) | instid1(VALU_DEP_3)
	v_add_co_ci_u32_e32 v58, vcc_lo, s1, v56, vcc_lo
	v_cvt_f32_f64_e32 v0, v[0:1]
	v_cvt_f32_f64_e32 v1, v[2:3]
	s_mul_i32 s2, s5, 0xc0
	v_mad_co_u64_u32 v[59:60], null, 0xc0, s4, v[57:58]
	v_cvt_f32_f64_e32 v2, v[4:5]
	v_cvt_f32_f64_e32 v3, v[6:7]
	v_mov_b32_e32 v38, v50
	v_cvt_f32_f64_e32 v4, v[8:9]
	v_cvt_f32_f64_e32 v5, v[10:11]
	v_mov_b32_e32 v50, v54
	s_wait_alu 0xfffe
	v_add_nc_u32_e32 v60, s2, v60
	v_cvt_f32_f64_e32 v6, v[12:13]
	v_cvt_f32_f64_e32 v7, v[14:15]
	v_mad_co_u64_u32 v[38:39], null, s5, v39, v[38:39]
	v_cvt_f32_f64_e32 v8, v[16:17]
	v_cvt_f32_f64_e32 v9, v[18:19]
	;; [unrolled: 1-line block ×14, first 2 shown]
	v_add_co_u32 v22, vcc_lo, v59, s0
	v_mad_co_u64_u32 v[39:40], null, s5, v40, v[50:51]
	s_wait_alu 0xfffd
	v_add_co_ci_u32_e32 v23, vcc_lo, s1, v60, vcc_lo
	s_delay_alu instid0(VALU_DEP_3) | instskip(SKIP_2) | instid1(VALU_DEP_3)
	v_add_co_u32 v24, vcc_lo, v22, s0
	v_mov_b32_e32 v50, v38
	s_wait_alu 0xfffd
	v_add_co_ci_u32_e32 v25, vcc_lo, s1, v23, vcc_lo
	v_mov_b32_e32 v54, v39
	s_delay_alu instid0(VALU_DEP_3) | instskip(NEXT) | instid1(VALU_DEP_3)
	v_lshlrev_b64_e32 v[26:27], 3, v[49:50]
	v_mad_co_u64_u32 v[28:29], null, 0xc0, s4, v[24:25]
	s_delay_alu instid0(VALU_DEP_3) | instskip(NEXT) | instid1(VALU_DEP_3)
	v_lshlrev_b64_e32 v[30:31], 3, v[53:54]
	v_add_co_u32 v26, vcc_lo, v61, v26
	s_wait_alu 0xfffd
	s_delay_alu instid0(VALU_DEP_4) | instskip(NEXT) | instid1(VALU_DEP_4)
	v_add_co_ci_u32_e32 v27, vcc_lo, v62, v27, vcc_lo
	v_add_nc_u32_e32 v29, s2, v29
	s_delay_alu instid0(VALU_DEP_4)
	v_add_co_u32 v30, vcc_lo, v61, v30
	s_wait_alu 0xfffd
	v_add_co_ci_u32_e32 v31, vcc_lo, v62, v31, vcc_lo
	v_add_co_u32 v32, vcc_lo, v28, s0
	s_wait_alu 0xfffd
	v_add_co_ci_u32_e32 v33, vcc_lo, s1, v29, vcc_lo
	s_clause 0x5
	global_store_b64 v[47:48], v[0:1], off
	global_store_b64 v[51:52], v[2:3], off
	;; [unrolled: 1-line block ×11, first 2 shown]
.LBB0_15:
	s_nop 0
	s_sendmsg sendmsg(MSG_DEALLOC_VGPRS)
	s_endpgm
	.section	.rodata,"a",@progbits
	.p2align	6, 0x0
	.amdhsa_kernel bluestein_single_fwd_len132_dim1_sp_op_CI_CI
		.amdhsa_group_segment_fixed_size 5280
		.amdhsa_private_segment_fixed_size 0
		.amdhsa_kernarg_size 104
		.amdhsa_user_sgpr_count 2
		.amdhsa_user_sgpr_dispatch_ptr 0
		.amdhsa_user_sgpr_queue_ptr 0
		.amdhsa_user_sgpr_kernarg_segment_ptr 1
		.amdhsa_user_sgpr_dispatch_id 0
		.amdhsa_user_sgpr_private_segment_size 0
		.amdhsa_wavefront_size32 1
		.amdhsa_uses_dynamic_stack 0
		.amdhsa_enable_private_segment 0
		.amdhsa_system_sgpr_workgroup_id_x 1
		.amdhsa_system_sgpr_workgroup_id_y 0
		.amdhsa_system_sgpr_workgroup_id_z 0
		.amdhsa_system_sgpr_workgroup_info 0
		.amdhsa_system_vgpr_workitem_id 0
		.amdhsa_next_free_vgpr 121
		.amdhsa_next_free_sgpr 16
		.amdhsa_reserve_vcc 1
		.amdhsa_float_round_mode_32 0
		.amdhsa_float_round_mode_16_64 0
		.amdhsa_float_denorm_mode_32 3
		.amdhsa_float_denorm_mode_16_64 3
		.amdhsa_fp16_overflow 0
		.amdhsa_workgroup_processor_mode 1
		.amdhsa_memory_ordered 1
		.amdhsa_forward_progress 0
		.amdhsa_round_robin_scheduling 0
		.amdhsa_exception_fp_ieee_invalid_op 0
		.amdhsa_exception_fp_denorm_src 0
		.amdhsa_exception_fp_ieee_div_zero 0
		.amdhsa_exception_fp_ieee_overflow 0
		.amdhsa_exception_fp_ieee_underflow 0
		.amdhsa_exception_fp_ieee_inexact 0
		.amdhsa_exception_int_div_zero 0
	.end_amdhsa_kernel
	.text
.Lfunc_end0:
	.size	bluestein_single_fwd_len132_dim1_sp_op_CI_CI, .Lfunc_end0-bluestein_single_fwd_len132_dim1_sp_op_CI_CI
                                        ; -- End function
	.section	.AMDGPU.csdata,"",@progbits
; Kernel info:
; codeLenInByte = 9436
; NumSgprs: 18
; NumVgprs: 121
; ScratchSize: 0
; MemoryBound: 0
; FloatMode: 240
; IeeeMode: 1
; LDSByteSize: 5280 bytes/workgroup (compile time only)
; SGPRBlocks: 2
; VGPRBlocks: 15
; NumSGPRsForWavesPerEU: 18
; NumVGPRsForWavesPerEU: 121
; Occupancy: 10
; WaveLimiterHint : 1
; COMPUTE_PGM_RSRC2:SCRATCH_EN: 0
; COMPUTE_PGM_RSRC2:USER_SGPR: 2
; COMPUTE_PGM_RSRC2:TRAP_HANDLER: 0
; COMPUTE_PGM_RSRC2:TGID_X_EN: 1
; COMPUTE_PGM_RSRC2:TGID_Y_EN: 0
; COMPUTE_PGM_RSRC2:TGID_Z_EN: 0
; COMPUTE_PGM_RSRC2:TIDIG_COMP_CNT: 0
	.text
	.p2alignl 7, 3214868480
	.fill 96, 4, 3214868480
	.type	__hip_cuid_970860aeabf97cc3,@object ; @__hip_cuid_970860aeabf97cc3
	.section	.bss,"aw",@nobits
	.globl	__hip_cuid_970860aeabf97cc3
__hip_cuid_970860aeabf97cc3:
	.byte	0                               ; 0x0
	.size	__hip_cuid_970860aeabf97cc3, 1

	.ident	"AMD clang version 19.0.0git (https://github.com/RadeonOpenCompute/llvm-project roc-6.4.0 25133 c7fe45cf4b819c5991fe208aaa96edf142730f1d)"
	.section	".note.GNU-stack","",@progbits
	.addrsig
	.addrsig_sym __hip_cuid_970860aeabf97cc3
	.amdgpu_metadata
---
amdhsa.kernels:
  - .args:
      - .actual_access:  read_only
        .address_space:  global
        .offset:         0
        .size:           8
        .value_kind:     global_buffer
      - .actual_access:  read_only
        .address_space:  global
        .offset:         8
        .size:           8
        .value_kind:     global_buffer
      - .actual_access:  read_only
        .address_space:  global
        .offset:         16
        .size:           8
        .value_kind:     global_buffer
      - .actual_access:  read_only
        .address_space:  global
        .offset:         24
        .size:           8
        .value_kind:     global_buffer
      - .actual_access:  read_only
        .address_space:  global
        .offset:         32
        .size:           8
        .value_kind:     global_buffer
      - .offset:         40
        .size:           8
        .value_kind:     by_value
      - .address_space:  global
        .offset:         48
        .size:           8
        .value_kind:     global_buffer
      - .address_space:  global
        .offset:         56
        .size:           8
        .value_kind:     global_buffer
      - .address_space:  global
        .offset:         64
        .size:           8
        .value_kind:     global_buffer
      - .address_space:  global
        .offset:         72
        .size:           8
        .value_kind:     global_buffer
      - .offset:         80
        .size:           4
        .value_kind:     by_value
      - .address_space:  global
        .offset:         88
        .size:           8
        .value_kind:     global_buffer
      - .address_space:  global
        .offset:         96
        .size:           8
        .value_kind:     global_buffer
    .group_segment_fixed_size: 5280
    .kernarg_segment_align: 8
    .kernarg_segment_size: 104
    .language:       OpenCL C
    .language_version:
      - 2
      - 0
    .max_flat_workgroup_size: 110
    .name:           bluestein_single_fwd_len132_dim1_sp_op_CI_CI
    .private_segment_fixed_size: 0
    .sgpr_count:     18
    .sgpr_spill_count: 0
    .symbol:         bluestein_single_fwd_len132_dim1_sp_op_CI_CI.kd
    .uniform_work_group_size: 1
    .uses_dynamic_stack: false
    .vgpr_count:     121
    .vgpr_spill_count: 0
    .wavefront_size: 32
    .workgroup_processor_mode: 1
amdhsa.target:   amdgcn-amd-amdhsa--gfx1201
amdhsa.version:
  - 1
  - 2
...

	.end_amdgpu_metadata
